;; amdgpu-corpus repo=LLNL/RAJAPerf kind=compiled arch=gfx942 opt=O3
	.text
	.amdgcn_target "amdgcn-amd-amdhsa--gfx942"
	.amdhsa_code_object_version 6
	.section	.text._ZN8rajaperf4apps8Mass3DEAILm64EEEvPdS2_S2_,"axG",@progbits,_ZN8rajaperf4apps8Mass3DEAILm64EEEvPdS2_S2_,comdat
	.protected	_ZN8rajaperf4apps8Mass3DEAILm64EEEvPdS2_S2_ ; -- Begin function _ZN8rajaperf4apps8Mass3DEAILm64EEEvPdS2_S2_
	.globl	_ZN8rajaperf4apps8Mass3DEAILm64EEEvPdS2_S2_
	.p2align	8
	.type	_ZN8rajaperf4apps8Mass3DEAILm64EEEvPdS2_S2_,@function
_ZN8rajaperf4apps8Mass3DEAILm64EEEvPdS2_S2_: ; @_ZN8rajaperf4apps8Mass3DEAILm64EEEvPdS2_S2_
; %bb.0:
	s_load_dwordx4 s[8:11], s[0:1], 0x0
	s_load_dwordx2 s[12:13], s[0:1], 0x10
	v_bfe_u32 v80, v0, 20, 10
	v_and_b32_e32 v2, 0x3ff, v0
	v_cmp_eq_u32_e64 s[0:1], 0, v80
	v_cmp_gt_u32_e32 vcc, 4, v2
	s_mov_b32 s3, 0
	s_and_b64 s[4:5], s[0:1], vcc
	v_bfe_u32 v0, v0, 10, 10
	s_and_saveexec_b64 s[6:7], s[4:5]
	s_cbranch_execz .LBB0_4
; %bb.1:
	v_cmp_gt_u32_e64 s[4:5], 5, v0
	s_and_saveexec_b64 s[14:15], s[4:5]
	s_xor_b64 s[14:15], exec, s[14:15]
	s_cbranch_execz .LBB0_4
; %bb.2:
	v_mul_u32_u24_e32 v6, 40, v2
	v_mov_b32_e32 v7, 0
	s_waitcnt lgkmcnt(0)
	v_lshl_add_u64 v[4:5], s[8:9], 0, v[6:7]
	v_lshlrev_b32_e32 v6, 3, v0
	v_lshl_add_u64 v[6:7], v[4:5], 0, v[6:7]
	global_load_dwordx2 v[6:7], v[6:7], off
	v_lshlrev_b32_e32 v1, 3, v2
	v_lshl_add_u32 v3, v0, 5, v1
	v_cmp_eq_u32_e64 s[4:5], 0, v0
	s_waitcnt vmcnt(0)
	ds_write_b64 v3, v[6:7] offset:1008
	s_and_saveexec_b64 s[8:9], s[4:5]
	s_xor_b64 s[8:9], exec, s[8:9]
	s_cbranch_execz .LBB0_4
; %bb.3:
	global_load_dwordx2 v[4:5], v[4:5], off offset:32
	s_waitcnt vmcnt(0)
	ds_write_b64 v1, v[4:5] offset:1136
.LBB0_4:
	s_or_b64 exec, exec, s[6:7]
	v_mov_b32_e32 v3, 0
	v_cmp_gt_u32_e64 s[4:5], 5, v2
	s_and_saveexec_b64 s[14:15], s[4:5]
	s_cbranch_execz .LBB0_13
; %bb.5:
	s_waitcnt lgkmcnt(0)
	s_mul_i32 s9, s2, 0x3e8
	s_mul_hi_u32 s8, s2, 0x3e8
	s_add_u32 s10, s10, s9
	v_mov_b32_e32 v1, v3
	v_cmp_gt_u32_e64 s[4:5], 5, v0
	v_cmp_gt_u32_e64 s[6:7], 5, v80
	s_addc_u32 s11, s11, s8
	s_movk_i32 s22, 0xc8
	v_mul_u32_u24_e32 v4, 0xc8, v80
	v_mov_b32_e32 v5, v3
	s_mov_b64 s[16:17], 0
	v_lshlrev_b32_e32 v15, 3, v80
	v_mov_b64_e32 v[6:7], v[2:3]
	s_branch .LBB0_7
.LBB0_6:                                ;   in Loop: Header=BB0_7 Depth=1
	s_or_b64 exec, exec, s[18:19]
	v_cmp_ne_u64_e64 s[8:9], 0, v[6:7]
	s_or_b64 s[16:17], s[8:9], s[16:17]
	v_mov_b64_e32 v[6:7], 4
	s_andn2_b64 exec, exec, s[16:17]
	s_cbranch_execz .LBB0_13
.LBB0_7:                                ; =>This Loop Header: Depth=1
                                        ;     Child Loop BB0_10 Depth 2
	s_and_saveexec_b64 s[18:19], s[4:5]
	s_cbranch_execz .LBB0_6
; %bb.8:                                ;   in Loop: Header=BB0_7 Depth=1
	v_lshl_add_u64 v[8:9], v[6:7], 3, s[10:11]
	s_mov_b64 s[20:21], 0
	v_mul_lo_u32 v3, v6, s22
	v_mov_b64_e32 v[10:11], v[0:1]
	s_branch .LBB0_10
.LBB0_9:                                ;   in Loop: Header=BB0_10 Depth=2
	s_or_b64 exec, exec, s[8:9]
	v_cmp_ne_u64_e64 s[8:9], 0, v[10:11]
	s_or_b64 s[20:21], s[8:9], s[20:21]
	v_mov_b64_e32 v[10:11], 4
	s_andn2_b64 exec, exec, s[20:21]
	s_cbranch_execz .LBB0_6
.LBB0_10:                               ;   Parent Loop BB0_7 Depth=1
                                        ; =>  This Inner Loop Header: Depth=2
	s_and_saveexec_b64 s[8:9], s[6:7]
	s_cbranch_execz .LBB0_9
; %bb.11:                               ;   in Loop: Header=BB0_10 Depth=2
	v_mul_hi_i32_i24_e32 v13, 40, v10
	v_mul_i32_i24_e32 v12, 40, v10
	v_lshl_add_u64 v[12:13], v[8:9], 0, v[12:13]
	v_lshl_add_u64 v[16:17], v[12:13], 0, v[4:5]
	global_load_dwordx2 v[16:17], v[16:17], off
	v_mul_lo_u32 v14, v10, 40
	v_add3_u32 v18, v3, v14, v15
	s_waitcnt vmcnt(0)
	ds_write_b64 v18, v[16:17]
	s_and_b64 exec, exec, s[0:1]
	s_cbranch_execz .LBB0_9
; %bb.12:                               ;   in Loop: Header=BB0_10 Depth=2
	global_load_dwordx2 v[12:13], v[12:13], off offset:800
	v_mad_u64_u32 v[16:17], s[24:25], v6, s22, v[14:15]
	s_waitcnt vmcnt(0)
	ds_write_b64 v16, v[12:13] offset:32
	s_branch .LBB0_9
.LBB0_13:
	s_or_b64 exec, exec, s[14:15]
	s_waitcnt lgkmcnt(0)
	; wave barrier
	s_waitcnt lgkmcnt(0)
	s_and_saveexec_b64 s[0:1], vcc
	s_cbranch_execz .LBB0_23
; %bb.14:
	v_or_b32_e32 v1, v0, v80
	v_cmp_gt_u32_e32 vcc, 4, v1
	s_and_b64 exec, exec, vcc
	s_cbranch_execz .LBB0_23
; %bb.15:
	v_mov_b32_e32 v65, 0
	v_lshlrev_b32_e32 v52, 3, v80
	v_lshlrev_b32_e32 v60, 3, v0
	v_lshlrev_b32_e32 v82, 2, v0
	ds_read_b64 v[84:85], v52 offset:1136
	ds_read_b64 v[86:87], v60 offset:1136
	v_lshlrev_b32_e32 v64, 3, v2
	ds_read_b128 v[0:3], v65
	ds_read_b128 v[4:7], v65 offset:16
	ds_read_b128 v[8:11], v65 offset:32
	;; [unrolled: 1-line block ×9, first 2 shown]
	ds_read_b64 v[88:89], v64 offset:1008
	ds_read_b64 v[90:91], v65 offset:192
	ds_read_b128 v[40:43], v65 offset:160
	ds_read_b128 v[44:47], v65 offset:176
	ds_read2_b64 v[48:51], v52 offset0:134 offset1:138
	ds_read2_b64 v[52:55], v52 offset0:126 offset1:130
	;; [unrolled: 1-line block ×4, first 2 shown]
	s_lshl_b64 s[0:1], s[2:3], 4
	v_lshl_add_u64 v[92:93], s[12:13], 0, v[64:65]
	s_movk_i32 s12, 0x410
	v_add_u32_e32 v81, 0x410, v64
	s_mov_b64 s[2:3], 0
.LBB0_16:                               ; =>This Loop Header: Depth=1
                                        ;     Child Loop BB0_17 Depth 2
                                        ;       Child Loop BB0_18 Depth 3
                                        ;         Child Loop BB0_19 Depth 4
	s_lshl_b32 s4, s2, 3
	v_mov_b32_e32 v64, s4
	ds_read_b64 v[64:65], v64 offset:1008
	s_lshl_b64 s[4:5], s[2:3], 2
	s_mov_b64 s[6:7], 0
	s_waitcnt lgkmcnt(0)
	v_mul_f64 v[64:65], v[88:89], v[64:65]
	v_mul_f64 v[94:95], v[64:65], v[56:57]
	;; [unrolled: 1-line block ×6, first 2 shown]
.LBB0_17:                               ;   Parent Loop BB0_16 Depth=1
                                        ; =>  This Loop Header: Depth=2
                                        ;       Child Loop BB0_18 Depth 3
                                        ;         Child Loop BB0_19 Depth 4
	s_lshl_b32 s8, s6, 3
	v_mov_b32_e32 v72, s8
	ds_read2_b64 v[64:67], v72 offset0:126 offset1:130
	ds_read2_b64 v[68:71], v72 offset0:134 offset1:138
	ds_read_b64 v[104:105], v72 offset:1136
	s_mov_b64 s[8:9], 0
	s_waitcnt lgkmcnt(2)
	v_mul_f64 v[72:73], v[94:95], v[64:65]
	s_waitcnt lgkmcnt(1)
	v_mul_f64 v[76:77], v[98:99], v[68:69]
	v_mul_f64 v[114:115], v[76:77], v[52:53]
	;; [unrolled: 1-line block ×13, first 2 shown]
	s_waitcnt lgkmcnt(0)
	v_mul_f64 v[76:77], v[102:103], v[104:105]
	v_mul_f64 v[106:107], v[72:73], v[52:53]
	;; [unrolled: 1-line block ×16, first 2 shown]
.LBB0_18:                               ;   Parent Loop BB0_16 Depth=1
                                        ;     Parent Loop BB0_17 Depth=2
                                        ; =>    This Loop Header: Depth=3
                                        ;         Child Loop BB0_19 Depth 4
	s_lshl_b32 s10, s8, 3
	v_mov_b32_e32 v83, s10
	ds_read2_b64 v[72:75], v83 offset0:126 offset1:130
	ds_read2_b64 v[76:79], v83 offset0:134 offset1:138
	ds_read_b64 v[158:159], v83 offset:1136
	s_mov_b64 s[10:11], 4
	s_movk_i32 s13, 0xc8
	s_waitcnt lgkmcnt(2)
	v_mul_f64 v[156:157], v[106:107], v[72:73]
	v_mul_f64 v[160:161], v[108:109], v[74:75]
	v_fma_f64 v[156:157], v[156:157], v[0:1], 0
	s_waitcnt lgkmcnt(1)
	v_mul_f64 v[162:163], v[144:145], v[76:77]
	v_fmac_f64_e32 v[156:157], v[160:161], v[2:3]
	v_fmac_f64_e32 v[156:157], v[162:163], v[4:5]
	v_mul_f64 v[160:161], v[146:147], v[78:79]
	v_fmac_f64_e32 v[156:157], v[160:161], v[6:7]
	s_waitcnt lgkmcnt(0)
	v_mul_f64 v[160:161], v[148:149], v[158:159]
	v_fmac_f64_e32 v[156:157], v[160:161], v[8:9]
	v_mul_f64 v[160:161], v[110:111], v[72:73]
	v_fmac_f64_e32 v[156:157], v[160:161], v[10:11]
	;; [unrolled: 2-line block ×21, first 2 shown]
	v_mov_b32_e32 v83, v81
	s_mov_b32 s14, s12
.LBB0_19:                               ;   Parent Loop BB0_16 Depth=1
                                        ;     Parent Loop BB0_17 Depth=2
                                        ;       Parent Loop BB0_18 Depth=3
                                        ; =>      This Inner Loop Header: Depth=4
	v_mov_b32_e32 v162, s14
	ds_read_b64 v[160:161], v83
	ds_read_b64 v[162:163], v162
	v_mov_b32_e32 v170, s13
	s_add_u32 s10, s10, -1
	s_addc_u32 s11, s11, -1
	s_addk_i32 s13, 0xc8
	s_waitcnt lgkmcnt(0)
	v_mul_f64 v[164:165], v[160:161], v[162:163]
	v_mul_f64 v[160:161], v[164:165], v[56:57]
	;; [unrolled: 1-line block ×5, first 2 shown]
	ds_read2_b64 v[160:163], v170 offset1:1
	s_add_i32 s14, s14, 32
	v_add_u32_e32 v83, 32, v83
	s_cmp_lg_u64 s[10:11], 0
	s_waitcnt lgkmcnt(0)
	v_fmac_f64_e32 v[156:157], v[168:169], v[160:161]
	v_mul_f64 v[160:161], v[166:167], v[54:55]
	v_mul_f64 v[160:161], v[160:161], v[74:75]
	v_fmac_f64_e32 v[156:157], v[160:161], v[162:163]
	v_mul_f64 v[160:161], v[166:167], v[48:49]
	v_mul_f64 v[168:169], v[160:161], v[76:77]
	ds_read2_b64 v[160:163], v170 offset0:2 offset1:3
	s_waitcnt lgkmcnt(0)
	v_fmac_f64_e32 v[156:157], v[168:169], v[160:161]
	v_mul_f64 v[160:161], v[166:167], v[50:51]
	v_mul_f64 v[160:161], v[160:161], v[78:79]
	v_fmac_f64_e32 v[156:157], v[160:161], v[162:163]
	v_mul_f64 v[160:161], v[166:167], v[84:85]
	v_mul_f64 v[166:167], v[160:161], v[158:159]
	ds_read2_b64 v[160:163], v170 offset0:4 offset1:5
	s_waitcnt lgkmcnt(0)
	v_fmac_f64_e32 v[156:157], v[166:167], v[160:161]
	v_mul_f64 v[160:161], v[164:165], v[58:59]
	v_mul_f64 v[166:167], v[160:161], v[66:67]
	;; [unrolled: 1-line block ×4, first 2 shown]
	v_fmac_f64_e32 v[156:157], v[160:161], v[162:163]
	v_mul_f64 v[160:161], v[166:167], v[54:55]
	v_mul_f64 v[168:169], v[160:161], v[74:75]
	ds_read2_b64 v[160:163], v170 offset0:6 offset1:7
	s_waitcnt lgkmcnt(0)
	v_fmac_f64_e32 v[156:157], v[168:169], v[160:161]
	v_mul_f64 v[160:161], v[166:167], v[48:49]
	v_mul_f64 v[160:161], v[160:161], v[76:77]
	v_fmac_f64_e32 v[156:157], v[160:161], v[162:163]
	v_mul_f64 v[160:161], v[166:167], v[50:51]
	v_mul_f64 v[168:169], v[160:161], v[78:79]
	ds_read2_b64 v[160:163], v170 offset0:8 offset1:9
	s_waitcnt lgkmcnt(0)
	v_fmac_f64_e32 v[156:157], v[168:169], v[160:161]
	v_mul_f64 v[160:161], v[166:167], v[84:85]
	v_mul_f64 v[160:161], v[160:161], v[158:159]
	v_fmac_f64_e32 v[156:157], v[160:161], v[162:163]
	v_mul_f64 v[160:161], v[164:165], v[60:61]
	v_mul_f64 v[166:167], v[160:161], v[68:69]
	;; [unrolled: 1-line block ×4, first 2 shown]
	ds_read2_b64 v[160:163], v170 offset0:10 offset1:11
	s_waitcnt lgkmcnt(0)
	v_fmac_f64_e32 v[156:157], v[168:169], v[160:161]
	v_mul_f64 v[160:161], v[166:167], v[54:55]
	v_mul_f64 v[160:161], v[160:161], v[74:75]
	v_fmac_f64_e32 v[156:157], v[160:161], v[162:163]
	v_mul_f64 v[160:161], v[166:167], v[48:49]
	v_mul_f64 v[168:169], v[160:161], v[76:77]
	ds_read2_b64 v[160:163], v170 offset0:12 offset1:13
	s_waitcnt lgkmcnt(0)
	v_fmac_f64_e32 v[156:157], v[168:169], v[160:161]
	v_mul_f64 v[160:161], v[166:167], v[50:51]
	v_mul_f64 v[160:161], v[160:161], v[78:79]
	v_fmac_f64_e32 v[156:157], v[160:161], v[162:163]
	v_mul_f64 v[160:161], v[166:167], v[84:85]
	v_mul_f64 v[166:167], v[160:161], v[158:159]
	ds_read2_b64 v[160:163], v170 offset0:14 offset1:15
	s_waitcnt lgkmcnt(0)
	v_fmac_f64_e32 v[156:157], v[166:167], v[160:161]
	v_mul_f64 v[160:161], v[164:165], v[62:63]
	v_mul_f64 v[166:167], v[160:161], v[70:71]
	;; [unrolled: 1-line block ×4, first 2 shown]
	v_fmac_f64_e32 v[156:157], v[160:161], v[162:163]
	v_mul_f64 v[160:161], v[166:167], v[54:55]
	v_mul_f64 v[168:169], v[160:161], v[74:75]
	ds_read2_b64 v[160:163], v170 offset0:16 offset1:17
	s_waitcnt lgkmcnt(0)
	v_fmac_f64_e32 v[156:157], v[168:169], v[160:161]
	v_mul_f64 v[160:161], v[166:167], v[48:49]
	v_mul_f64 v[160:161], v[160:161], v[76:77]
	v_fmac_f64_e32 v[156:157], v[160:161], v[162:163]
	v_mul_f64 v[160:161], v[166:167], v[50:51]
	v_mul_f64 v[168:169], v[160:161], v[78:79]
	ds_read2_b64 v[160:163], v170 offset0:18 offset1:19
	s_waitcnt lgkmcnt(0)
	v_fmac_f64_e32 v[156:157], v[168:169], v[160:161]
	v_mul_f64 v[160:161], v[166:167], v[84:85]
	v_mul_f64 v[160:161], v[160:161], v[158:159]
	v_fmac_f64_e32 v[156:157], v[160:161], v[162:163]
	v_mul_f64 v[160:161], v[164:165], v[86:87]
	v_mul_f64 v[164:165], v[160:161], v[104:105]
	;; [unrolled: 1-line block ×4, first 2 shown]
	ds_read2_b64 v[160:163], v170 offset0:20 offset1:21
	s_waitcnt lgkmcnt(0)
	v_fmac_f64_e32 v[156:157], v[166:167], v[160:161]
	v_mul_f64 v[160:161], v[164:165], v[54:55]
	v_mul_f64 v[160:161], v[160:161], v[74:75]
	v_fmac_f64_e32 v[156:157], v[160:161], v[162:163]
	v_mul_f64 v[160:161], v[164:165], v[48:49]
	v_mul_f64 v[166:167], v[160:161], v[76:77]
	ds_read2_b64 v[160:163], v170 offset0:22 offset1:23
	s_waitcnt lgkmcnt(0)
	v_fmac_f64_e32 v[156:157], v[166:167], v[160:161]
	v_mul_f64 v[160:161], v[164:165], v[50:51]
	v_mul_f64 v[160:161], v[160:161], v[78:79]
	v_fmac_f64_e32 v[156:157], v[160:161], v[162:163]
	ds_read_b64 v[162:163], v170 offset:192
	v_mul_f64 v[160:161], v[164:165], v[84:85]
	v_mul_f64 v[160:161], v[160:161], v[158:159]
	s_waitcnt lgkmcnt(0)
	v_fmac_f64_e32 v[156:157], v[160:161], v[162:163]
	s_cbranch_scc1 .LBB0_19
; %bb.20:                               ;   in Loop: Header=BB0_18 Depth=3
	s_lshl_b64 s[10:11], s[8:9], 2
	s_add_u32 s10, s10, s0
	s_addc_u32 s11, s11, s1
	s_add_u32 s10, s10, s6
	s_addc_u32 s11, s11, s7
	s_lshl_b64 s[10:11], s[10:11], 4
	s_add_u32 s10, s10, s4
	s_addc_u32 s11, s11, s5
	v_or_b32_e64 v73, s11, 0
	v_or_b32_e32 v72, s10, v80
	v_lshlrev_b64 v[72:73], 7, v[72:73]
	s_add_u32 s8, s8, 1
	v_lshl_or_b32 v72, v82, 3, v72
	s_addc_u32 s9, s9, 0
	v_lshl_add_u64 v[72:73], v[92:93], 0, v[72:73]
	s_cmp_eq_u64 s[8:9], 4
	global_store_dwordx2 v[72:73], v[156:157], off
	s_cbranch_scc0 .LBB0_18
; %bb.21:                               ;   in Loop: Header=BB0_17 Depth=2
	s_add_u32 s6, s6, 1
	s_addc_u32 s7, s7, 0
	s_cmp_eq_u64 s[6:7], 4
	s_cbranch_scc0 .LBB0_17
; %bb.22:                               ;   in Loop: Header=BB0_16 Depth=1
	s_add_u32 s2, s2, 1
	s_addc_u32 s3, s3, 0
	s_add_i32 s12, s12, 8
	s_cmp_eq_u64 s[2:3], 4
	s_cbranch_scc0 .LBB0_16
.LBB0_23:
	s_endpgm
	.section	.rodata,"a",@progbits
	.p2align	6, 0x0
	.amdhsa_kernel _ZN8rajaperf4apps8Mass3DEAILm64EEEvPdS2_S2_
		.amdhsa_group_segment_fixed_size 1168
		.amdhsa_private_segment_fixed_size 0
		.amdhsa_kernarg_size 24
		.amdhsa_user_sgpr_count 2
		.amdhsa_user_sgpr_dispatch_ptr 0
		.amdhsa_user_sgpr_queue_ptr 0
		.amdhsa_user_sgpr_kernarg_segment_ptr 1
		.amdhsa_user_sgpr_dispatch_id 0
		.amdhsa_user_sgpr_kernarg_preload_length 0
		.amdhsa_user_sgpr_kernarg_preload_offset 0
		.amdhsa_user_sgpr_private_segment_size 0
		.amdhsa_uses_dynamic_stack 0
		.amdhsa_enable_private_segment 0
		.amdhsa_system_sgpr_workgroup_id_x 1
		.amdhsa_system_sgpr_workgroup_id_y 0
		.amdhsa_system_sgpr_workgroup_id_z 0
		.amdhsa_system_sgpr_workgroup_info 0
		.amdhsa_system_vgpr_workitem_id 2
		.amdhsa_next_free_vgpr 171
		.amdhsa_next_free_sgpr 26
		.amdhsa_accum_offset 172
		.amdhsa_reserve_vcc 1
		.amdhsa_float_round_mode_32 0
		.amdhsa_float_round_mode_16_64 0
		.amdhsa_float_denorm_mode_32 3
		.amdhsa_float_denorm_mode_16_64 3
		.amdhsa_dx10_clamp 1
		.amdhsa_ieee_mode 1
		.amdhsa_fp16_overflow 0
		.amdhsa_tg_split 0
		.amdhsa_exception_fp_ieee_invalid_op 0
		.amdhsa_exception_fp_denorm_src 0
		.amdhsa_exception_fp_ieee_div_zero 0
		.amdhsa_exception_fp_ieee_overflow 0
		.amdhsa_exception_fp_ieee_underflow 0
		.amdhsa_exception_fp_ieee_inexact 0
		.amdhsa_exception_int_div_zero 0
	.end_amdhsa_kernel
	.section	.text._ZN8rajaperf4apps8Mass3DEAILm64EEEvPdS2_S2_,"axG",@progbits,_ZN8rajaperf4apps8Mass3DEAILm64EEEvPdS2_S2_,comdat
.Lfunc_end0:
	.size	_ZN8rajaperf4apps8Mass3DEAILm64EEEvPdS2_S2_, .Lfunc_end0-_ZN8rajaperf4apps8Mass3DEAILm64EEEvPdS2_S2_
                                        ; -- End function
	.section	.AMDGPU.csdata,"",@progbits
; Kernel info:
; codeLenInByte = 2400
; NumSgprs: 32
; NumVgprs: 171
; NumAgprs: 0
; TotalNumVgprs: 171
; ScratchSize: 0
; MemoryBound: 0
; FloatMode: 240
; IeeeMode: 1
; LDSByteSize: 1168 bytes/workgroup (compile time only)
; SGPRBlocks: 3
; VGPRBlocks: 21
; NumSGPRsForWavesPerEU: 32
; NumVGPRsForWavesPerEU: 171
; AccumOffset: 172
; Occupancy: 2
; WaveLimiterHint : 0
; COMPUTE_PGM_RSRC2:SCRATCH_EN: 0
; COMPUTE_PGM_RSRC2:USER_SGPR: 2
; COMPUTE_PGM_RSRC2:TRAP_HANDLER: 0
; COMPUTE_PGM_RSRC2:TGID_X_EN: 1
; COMPUTE_PGM_RSRC2:TGID_Y_EN: 0
; COMPUTE_PGM_RSRC2:TGID_Z_EN: 0
; COMPUTE_PGM_RSRC2:TIDIG_COMP_CNT: 2
; COMPUTE_PGM_RSRC3_GFX90A:ACCUM_OFFSET: 42
; COMPUTE_PGM_RSRC3_GFX90A:TG_SPLIT: 0
	.section	.text._ZN4RAJA34launch_new_reduce_global_fcn_fixedIZN8rajaperf4apps8MASS3DEA17runHipVariantImplILm64ELm0EEEvNS1_9VariantIDEEUlNS_14LaunchContextTINS_3hip33LaunchContextIndicesAndDimsPolicyINS7_14IndicesAndDimsILb0ELb0ELb0ELb0EEEEEEEE_Li64ENS_4expt15ForallParamPackIJEEEEEvT_T1_,"axG",@progbits,_ZN4RAJA34launch_new_reduce_global_fcn_fixedIZN8rajaperf4apps8MASS3DEA17runHipVariantImplILm64ELm0EEEvNS1_9VariantIDEEUlNS_14LaunchContextTINS_3hip33LaunchContextIndicesAndDimsPolicyINS7_14IndicesAndDimsILb0ELb0ELb0ELb0EEEEEEEE_Li64ENS_4expt15ForallParamPackIJEEEEEvT_T1_,comdat
	.protected	_ZN4RAJA34launch_new_reduce_global_fcn_fixedIZN8rajaperf4apps8MASS3DEA17runHipVariantImplILm64ELm0EEEvNS1_9VariantIDEEUlNS_14LaunchContextTINS_3hip33LaunchContextIndicesAndDimsPolicyINS7_14IndicesAndDimsILb0ELb0ELb0ELb0EEEEEEEE_Li64ENS_4expt15ForallParamPackIJEEEEEvT_T1_ ; -- Begin function _ZN4RAJA34launch_new_reduce_global_fcn_fixedIZN8rajaperf4apps8MASS3DEA17runHipVariantImplILm64ELm0EEEvNS1_9VariantIDEEUlNS_14LaunchContextTINS_3hip33LaunchContextIndicesAndDimsPolicyINS7_14IndicesAndDimsILb0ELb0ELb0ELb0EEEEEEEE_Li64ENS_4expt15ForallParamPackIJEEEEEvT_T1_
	.globl	_ZN4RAJA34launch_new_reduce_global_fcn_fixedIZN8rajaperf4apps8MASS3DEA17runHipVariantImplILm64ELm0EEEvNS1_9VariantIDEEUlNS_14LaunchContextTINS_3hip33LaunchContextIndicesAndDimsPolicyINS7_14IndicesAndDimsILb0ELb0ELb0ELb0EEEEEEEE_Li64ENS_4expt15ForallParamPackIJEEEEEvT_T1_
	.p2align	8
	.type	_ZN4RAJA34launch_new_reduce_global_fcn_fixedIZN8rajaperf4apps8MASS3DEA17runHipVariantImplILm64ELm0EEEvNS1_9VariantIDEEUlNS_14LaunchContextTINS_3hip33LaunchContextIndicesAndDimsPolicyINS7_14IndicesAndDimsILb0ELb0ELb0ELb0EEEEEEEE_Li64ENS_4expt15ForallParamPackIJEEEEEvT_T1_,@function
_ZN4RAJA34launch_new_reduce_global_fcn_fixedIZN8rajaperf4apps8MASS3DEA17runHipVariantImplILm64ELm0EEEvNS1_9VariantIDEEUlNS_14LaunchContextTINS_3hip33LaunchContextIndicesAndDimsPolicyINS7_14IndicesAndDimsILb0ELb0ELb0ELb0EEEEEEEE_Li64ENS_4expt15ForallParamPackIJEEEEEvT_T1_: ; @_ZN4RAJA34launch_new_reduce_global_fcn_fixedIZN8rajaperf4apps8MASS3DEA17runHipVariantImplILm64ELm0EEEvNS1_9VariantIDEEUlNS_14LaunchContextTINS_3hip33LaunchContextIndicesAndDimsPolicyINS7_14IndicesAndDimsILb0ELb0ELb0ELb0EEEEEEEE_Li64ENS_4expt15ForallParamPackIJEEEEEvT_T1_
; %bb.0:
	s_load_dwordx8 s[8:15], s[0:1], 0x0
	s_mov_b32 s3, 0
	v_mov_b64_e32 v[2:3], s[2:3]
	s_waitcnt lgkmcnt(0)
	v_cmp_le_i64_e32 vcc, s[8:9], v[2:3]
	s_cbranch_vccnz .LBB1_25
; %bb.1:
	v_bfe_u32 v9, v0, 20, 10
	v_cmp_eq_u32_e32 vcc, 0, v9
	v_and_b32_e32 v8, 0x3ff, v0
	v_bfe_u32 v10, v0, 10, 10
	s_and_saveexec_b64 s[6:7], vcc
	s_cbranch_execz .LBB1_5
; %bb.2:
	v_cmp_gt_u32_e64 s[0:1], 4, v8
	v_cmp_gt_u32_e64 s[4:5], 5, v10
	s_and_b64 s[0:1], s[0:1], s[4:5]
	s_and_b64 exec, exec, s[0:1]
	s_cbranch_execz .LBB1_5
; %bb.3:
	v_mul_u32_u24_e32 v2, 40, v8
	v_mov_b32_e32 v3, 0
	v_lshl_add_u64 v[0:1], s[10:11], 0, v[2:3]
	v_lshlrev_b32_e32 v2, 3, v10
	v_lshl_add_u64 v[2:3], v[0:1], 0, v[2:3]
	global_load_dwordx2 v[4:5], v[2:3], off
	v_lshlrev_b32_e32 v2, 3, v8
	v_lshl_add_u32 v3, v10, 5, v2
	v_cmp_eq_u32_e64 s[0:1], 0, v10
	s_waitcnt vmcnt(0)
	ds_write_b64 v3, v[4:5] offset:1008
	s_and_b64 exec, exec, s[0:1]
	s_cbranch_execz .LBB1_5
; %bb.4:
	global_load_dwordx2 v[0:1], v[0:1], off offset:32
	s_waitcnt vmcnt(0)
	ds_write_b64 v2, v[0:1] offset:1136
.LBB1_5:
	s_or_b64 exec, exec, s[6:7]
	v_cmp_gt_u32_e64 s[0:1], 5, v8
	s_and_saveexec_b64 s[10:11], s[0:1]
	s_cbranch_execz .LBB1_20
; %bb.6:
	v_cmp_gt_u32_e64 s[0:1], 5, v9
	v_cmp_eq_u32_e64 s[8:9], 0, v10
	s_and_b64 s[16:17], s[8:9], s[0:1]
	s_mul_i32 s8, s2, 0x3e8
	v_mov_b32_e32 v1, 0
	s_mul_hi_u32 s9, s2, 0x3e8
	s_add_u32 s8, s12, s8
	v_mul_u32_u24_e32 v2, 40, v10
	v_mov_b32_e32 v3, v1
	s_addc_u32 s9, s13, s9
	v_cmp_lt_u32_e64 s[4:5], 4, v10
	v_cmp_gt_u32_e64 s[6:7], 5, v10
	v_mul_u32_u24_e32 v0, 0xc8, v9
	v_lshl_add_u64 v[4:5], s[8:9], 0, v[2:3]
	s_and_saveexec_b64 s[12:13], s[6:7]
	s_cbranch_execz .LBB1_13
; %bb.7:
	s_and_saveexec_b64 s[6:7], s[0:1]
	s_cbranch_execz .LBB1_10
; %bb.8:
	v_lshlrev_b32_e32 v6, 3, v8
	v_mov_b32_e32 v7, 0
	v_lshl_add_u64 v[6:7], v[4:5], 0, v[6:7]
	v_lshl_add_u64 v[12:13], v[6:7], 0, v[0:1]
	global_load_dwordx2 v[12:13], v[12:13], off
	v_lshlrev_b32_e32 v3, 3, v9
	v_mul_u32_u24_e32 v11, 0xc8, v8
	s_movk_i32 s18, 0xc8
	v_add3_u32 v3, v11, v2, v3
	s_waitcnt vmcnt(0)
	ds_write_b64 v3, v[12:13]
	s_and_b64 exec, exec, vcc
	s_cbranch_execz .LBB1_10
; %bb.9:
	global_load_dwordx2 v[6:7], v[6:7], off offset:800
	v_mad_u32_u24 v3, v8, s18, v2
	s_waitcnt vmcnt(0)
	ds_write_b64 v3, v[6:7] offset:32
.LBB1_10:
	s_or_b64 exec, exec, s[6:7]
	s_and_b64 exec, exec, s[16:17]
	s_cbranch_execz .LBB1_13
; %bb.11:
	v_lshlrev_b32_e32 v6, 3, v8
	v_mov_b32_e32 v7, 0
	v_lshl_add_u64 v[6:7], s[8:9], 0, v[6:7]
	v_lshl_add_u64 v[12:13], v[6:7], 0, v[0:1]
	global_load_dwordx2 v[12:13], v[12:13], off offset:160
	v_lshlrev_b32_e32 v3, 3, v9
	s_movk_i32 s6, 0xc8
	v_mad_u32_u24 v3, v8, s6, v3
	s_waitcnt vmcnt(0)
	ds_write_b64 v3, v[12:13] offset:160
	s_and_b64 exec, exec, vcc
	s_cbranch_execz .LBB1_13
; %bb.12:
	global_load_dwordx2 v[6:7], v[6:7], off offset:960
	v_mul_u32_u24_e32 v3, 0xc8, v8
	s_waitcnt vmcnt(0)
	ds_write_b64 v3, v[6:7] offset:192
.LBB1_13:
	s_or_b64 exec, exec, s[12:13]
	v_cmp_eq_u32_e64 s[6:7], 0, v8
	s_xor_b64 s[4:5], s[4:5], -1
	s_and_b64 s[4:5], s[6:7], s[4:5]
	s_and_b64 exec, exec, s[4:5]
	s_cbranch_execz .LBB1_20
; %bb.14:
	s_and_saveexec_b64 s[4:5], s[0:1]
	s_cbranch_execz .LBB1_17
; %bb.15:
	v_lshl_add_u64 v[6:7], v[4:5], 0, v[0:1]
	global_load_dwordx2 v[6:7], v[6:7], off offset:32
	v_lshlrev_b32_e32 v3, 3, v9
	v_mad_u32_u24 v3, v10, 40, v3
	s_waitcnt vmcnt(0)
	ds_write_b64 v3, v[6:7] offset:800
	s_and_b64 exec, exec, vcc
	s_cbranch_execz .LBB1_17
; %bb.16:
	global_load_dwordx2 v[4:5], v[4:5], off offset:832
	s_waitcnt vmcnt(0)
	ds_write_b64 v2, v[4:5] offset:832
.LBB1_17:
	s_or_b64 exec, exec, s[4:5]
	s_and_b64 exec, exec, s[16:17]
	s_cbranch_execz .LBB1_20
; %bb.18:
	s_add_u32 s0, s8, 0xa0
	s_addc_u32 s1, s9, 0
	v_lshl_add_u64 v[0:1], s[0:1], 0, v[0:1]
	global_load_dwordx2 v[0:1], v[0:1], off offset:32
	v_lshlrev_b32_e32 v2, 3, v9
	s_waitcnt vmcnt(0)
	ds_write_b64 v2, v[0:1] offset:960
	s_and_b64 exec, exec, vcc
	s_cbranch_execz .LBB1_20
; %bb.19:
	s_load_dwordx2 s[0:1], s[0:1], 0x340
	v_mov_b32_e32 v2, 0
	s_waitcnt lgkmcnt(0)
	v_mov_b64_e32 v[0:1], s[0:1]
	ds_write_b64 v2, v[0:1] offset:992
.LBB1_20:
	s_or_b64 exec, exec, s[10:11]
	v_cmp_gt_u32_e32 vcc, 4, v8
	s_waitcnt lgkmcnt(0)
	; wave barrier
	s_waitcnt lgkmcnt(0)
	s_and_saveexec_b64 s[0:1], vcc
	s_cbranch_execz .LBB1_25
; %bb.21:
	v_cmp_gt_u32_e32 vcc, 4, v10
	s_and_b64 exec, exec, vcc
	s_cbranch_execz .LBB1_25
; %bb.22:
	v_cmp_gt_u32_e32 vcc, 4, v9
	s_and_b64 exec, exec, vcc
	s_cbranch_execz .LBB1_25
; %bb.23:
	v_lshlrev_b32_e32 v0, 3, v10
	v_add_u32_e32 v1, 0x3f0, v0
	scratch_store_dword off, v1, off offset:1960 ; 4-byte Folded Spill
	v_lshlrev_b32_e32 v1, 3, v9
	v_add_u32_e32 v2, 0x3f0, v1
	v_lshlrev_b32_e32 v16, 3, v8
	scratch_store_dword off, v2, off offset:1964 ; 4-byte Folded Spill
	v_add_u32_e32 v2, 0x3f0, v16
	scratch_store_dword off, v2, off offset:1884 ; 4-byte Folded Spill
	ds_read2_b64 v[2:5], v1 offset0:126 offset1:130
	v_mov_b32_e32 v7, 0
	s_lshl_b64 s[0:1], s[2:3], 15
	v_lshlrev_b32_e32 v18, 7, v9
	v_mov_b32_e32 v19, v7
	s_waitcnt lgkmcnt(0)
	scratch_store_dwordx4 off, v[2:5], off offset:1888 ; 16-byte Folded Spill
	ds_read2_b64 v[2:5], v7 offset0:126 offset1:130
	v_lshlrev_b32_e32 v6, 5, v10
	v_mov_b32_e32 v17, v7
	s_movk_i32 s4, 0x3f0
	s_movk_i32 s2, 0x2000
	s_waitcnt lgkmcnt(0)
	scratch_store_dwordx4 off, v[2:5], off offset:1904 ; 16-byte Folded Spill
	ds_read2_b64 v[2:5], v1 offset0:134 offset1:138
	s_movk_i32 s3, 0x4000
	s_movk_i32 s5, 0x6000
	;; [unrolled: 1-line block ×4, first 2 shown]
	s_waitcnt lgkmcnt(0)
	scratch_store_dwordx4 off, v[2:5], off offset:1920 ; 16-byte Folded Spill
	ds_read2_b64 v[2:5], v7 offset0:134 offset1:138
	s_movk_i32 s8, 0x5000
	s_movk_i32 s9, 0x7000
	s_waitcnt lgkmcnt(0)
	scratch_store_dwordx4 off, v[2:5], off offset:1936 ; 16-byte Folded Spill
	ds_read_b64 v[2:3], v7 offset:1136
	s_waitcnt lgkmcnt(0)
	scratch_store_dwordx2 off, v[2:3], off offset:1968 ; 8-byte Folded Spill
	ds_read2_b64 v[2:5], v0 offset0:126 offset1:130
	s_waitcnt lgkmcnt(0)
	scratch_store_dwordx4 off, v[2:5], off offset:576 ; 16-byte Folded Spill
	ds_read2_b64 v[2:5], v0 offset0:134 offset1:138
	s_waitcnt lgkmcnt(0)
	scratch_store_dwordx4 off, v[2:5], off offset:592 ; 16-byte Folded Spill
	ds_read_b64 v[2:3], v16 offset:1136
	s_waitcnt lgkmcnt(0)
	scratch_store_dwordx2 off, v[2:3], off offset:1952 ; 8-byte Folded Spill
	ds_read_b64 v[2:3], v1 offset:1136
	ds_read_b64 v[0:1], v0 offset:1136
	s_waitcnt lgkmcnt(1)
	scratch_store_dwordx2 off, v[2:3], off offset:2056 ; 8-byte Folded Spill
	s_waitcnt lgkmcnt(0)
	scratch_store_dwordx2 off, v[0:1], off offset:608 ; 8-byte Folded Spill
	ds_read2_b64 v[0:3], v16 offset0:126 offset1:130
	s_waitcnt lgkmcnt(0)
	scratch_store_dwordx4 off, v[0:3], off offset:1976 ; 16-byte Folded Spill
	ds_read2_b64 v[0:3], v7 offset1:124
	s_waitcnt lgkmcnt(0)
	scratch_store_dwordx4 off, v[0:3], off offset:1992 ; 16-byte Folded Spill
	ds_read_b128 v[0:3], v7
	s_waitcnt lgkmcnt(0)
	scratch_store_dwordx4 off, v[0:3], off offset:2008 ; 16-byte Folded Spill
	ds_read2_b64 v[0:3], v7 offset0:1 offset1:2
	s_waitcnt lgkmcnt(0)
	scratch_store_dwordx4 off, v[0:3], off offset:2024 ; 16-byte Folded Spill
	ds_read2_b64 v[2:5], v16 offset0:134 offset1:138
	s_nop 0
	v_lshl_add_u64 v[0:1], s[0:1], 0, v[18:19]
	v_lshl_add_u64 v[0:1], v[0:1], 0, v[6:7]
	;; [unrolled: 1-line block ×4, first 2 shown]
	s_waitcnt lgkmcnt(0)
	scratch_store_dwordx4 off, v[2:5], off offset:2040 ; 16-byte Folded Spill
	scratch_store_dwordx2 off, v[0:1], off offset:2592 ; 8-byte Folded Spill
	ds_read_b128 v[0:3], v7 offset:16
	s_mov_b64 s[0:1], 0
	s_waitcnt lgkmcnt(0)
	scratch_store_dwordx4 off, v[0:3], off offset:2064 ; 16-byte Folded Spill
	ds_read2_b64 v[0:3], v7 offset0:3 offset1:4
	s_waitcnt lgkmcnt(0)
	scratch_store_dwordx4 off, v[0:3], off offset:2080 ; 16-byte Folded Spill
	ds_read_b128 v[0:3], v7 offset:32
	s_waitcnt lgkmcnt(0)
	scratch_store_dwordx4 off, v[0:3], off  ; 16-byte Folded Spill
	ds_read2_b64 v[0:3], v7 offset0:5 offset1:6
	s_waitcnt lgkmcnt(0)
	scratch_store_dwordx4 off, v[0:3], off offset:2096 ; 16-byte Folded Spill
	ds_read_b128 v[0:3], v7 offset:48
	s_waitcnt lgkmcnt(0)
	scratch_store_dwordx4 off, v[0:3], off offset:2112 ; 16-byte Folded Spill
	ds_read2_b64 v[0:3], v7 offset0:7 offset1:8
	s_waitcnt lgkmcnt(0)
	scratch_store_dwordx4 off, v[0:3], off offset:2128 ; 16-byte Folded Spill
	ds_read_b128 v[0:3], v7 offset:64
	s_waitcnt lgkmcnt(0)
	scratch_store_dwordx4 off, v[0:3], off offset:2144 ; 16-byte Folded Spill
	;; [unrolled: 6-line block ×14, first 2 shown]
	ds_read_b128 v[0:3], v7 offset:272
	s_waitcnt lgkmcnt(0)
	scratch_store_dwordx4 off, v[0:3], off offset:616 ; 16-byte Folded Spill
	ds_read_b128 v[0:3], v7 offset:288
	s_waitcnt lgkmcnt(0)
	scratch_store_dwordx4 off, v[0:3], off offset:632 ; 16-byte Folded Spill
	;; [unrolled: 3-line block ×54, first 2 shown]
	s_nop 1
	v_mov_b32_e32 v1, v7
	scratch_store_dwordx2 off, v[0:1], off offset:3208 ; 8-byte Folded Spill
	ds_read_b128 v[0:3], v7 offset:1152
	s_waitcnt lgkmcnt(0)
	scratch_store_dwordx4 off, v[0:3], off offset:3192 ; 16-byte Folded Spill
.LBB1_24:                               ; =>This Inner Loop Header: Depth=1
	scratch_load_dwordx2 v[0:1], off, off offset:2592 ; 8-byte Folded Reload
	s_nop 0
	v_mov_b32_e32 v2, s4
	v_mov_b32_e32 v64, s4
	s_waitcnt vmcnt(0)
	v_lshl_add_u64 v[66:67], v[0:1], 0, s[0:1]
	ds_read_b64 v[0:1], v2
	ds_read2_b64 v[18:21], v2 offset1:4
	scratch_load_dwordx4 v[4:7], off, off offset:576 ; 16-byte Folded Reload
	scratch_load_dwordx4 v[36:39], off, off offset:616 ; 16-byte Folded Reload
	;; [unrolled: 1-line block ×8, first 2 shown]
	scratch_load_dwordx2 v[208:209], off, off offset:2056 ; 8-byte Folded Reload
	scratch_load_dwordx4 v[116:119], off, off offset:2160 ; 16-byte Folded Reload
	scratch_load_dwordx4 v[128:131], off, off offset:2176 ; 16-byte Folded Reload
	;; [unrolled: 1-line block ×19, first 2 shown]
	v_accvgpr_write_b32 a223, v67
	s_waitcnt lgkmcnt(0)
	scratch_store_dwordx4 off, v[18:21], off offset:1096 ; 16-byte Folded Spill
	scratch_load_dwordx4 v[16:19], off, off offset:1976 ; 16-byte Folded Reload
	v_accvgpr_write_b32 a222, v66
	s_add_u32 s0, s0, 0x200
	s_addc_u32 s1, s1, 0
	s_add_i32 s4, s4, 8
	s_cmp_lg_u64 s[0:1], 0x800
	s_waitcnt vmcnt(29)
	v_mov_b64_e32 v[142:143], v[6:7]
	v_mov_b64_e32 v[140:141], v[4:5]
	s_waitcnt vmcnt(25)
	v_accvgpr_write_b32 a141, v59
	v_accvgpr_write_b32 a140, v58
	s_waitcnt vmcnt(23)
	v_accvgpr_write_b32 a81, v11
	v_accvgpr_write_b32 a80, v10
	v_accvgpr_write_b32 a79, v9
	v_accvgpr_write_b32 a78, v8
	s_waitcnt vmcnt(22)
	v_accvgpr_write_b32 a69, v25
	v_accvgpr_write_b32 a68, v24
	v_accvgpr_write_b32 a67, v23
	v_accvgpr_write_b32 a66, v22
	v_accvgpr_write_b32 a139, v57
	v_accvgpr_write_b32 a138, v56
	s_waitcnt vmcnt(14)
	v_accvgpr_write_b32 a166, v230
	v_accvgpr_write_b32 a167, v231
	;; [unrolled: 7-line block ×3, first 2 shown]
	v_accvgpr_write_b32 a215, v69
	v_accvgpr_write_b32 a214, v68
	s_waitcnt vmcnt(6)
	v_accvgpr_write_b32 a221, v171
	v_accvgpr_write_b32 a220, v170
	;; [unrolled: 1-line block ×4, first 2 shown]
	s_waitcnt vmcnt(0)
	v_mul_f64 v[2:3], v[16:17], v[0:1]
	v_mul_f64 v[0:1], v[4:5], v[2:3]
	;; [unrolled: 1-line block ×3, first 2 shown]
	scratch_store_dwordx2 off, v[0:1], off offset:776 ; 8-byte Folded Spill
	v_mul_f64 v[0:1], v[28:29], v[4:5]
	scratch_store_dwordx2 off, v[0:1], off offset:112 ; 8-byte Folded Spill
	v_mul_f64 v[0:1], v[12:13], v[0:1]
	v_mul_f64 v[6:7], v[30:31], v[4:5]
	v_fma_f64 v[0:1], v[56:57], v[0:1], 0
	scratch_store_dwordx2 off, v[6:7], off offset:128 ; 8-byte Folded Spill
	v_mul_f64 v[6:7], v[14:15], v[6:7]
	v_fmac_f64_e32 v[0:1], v[10:11], v[6:7]
	scratch_load_dwordx4 v[8:11], off, off offset:1936 ; 16-byte Folded Reload
	v_mul_f64 v[16:17], v[40:41], v[4:5]
	v_mov_b64_e32 v[76:77], v[16:17]
	v_accvgpr_write_b32 a10, v184
	v_accvgpr_write_b32 a11, v185
	;; [unrolled: 1-line block ×8, first 2 shown]
	scratch_store_dwordx2 off, v[76:77], off offset:1624 ; 8-byte Folded Spill
	v_accvgpr_write_b32 a96, v160
	v_accvgpr_write_b32 a97, v161
	;; [unrolled: 1-line block ×14, first 2 shown]
	s_waitcnt vmcnt(1)
	v_mul_f64 v[6:7], v[8:9], v[16:17]
	v_fmac_f64_e32 v[0:1], v[24:25], v[6:7]
	scratch_load_dwordx4 v[22:25], off, off offset:2064 ; 16-byte Folded Reload
	v_mul_f64 v[16:17], v[42:43], v[4:5]
	v_mul_f64 v[6:7], v[10:11], v[16:17]
	v_mov_b64_e32 v[80:81], v[16:17]
	scratch_load_dwordx2 v[16:17], off, off offset:1968 ; 8-byte Folded Reload
	s_waitcnt vmcnt(1)
	v_accvgpr_write_b32 a87, v25
	v_fmac_f64_e32 v[0:1], v[24:25], v[6:7]
	v_accvgpr_write_b32 a86, v24
	v_accvgpr_write_b32 a85, v23
	;; [unrolled: 1-line block ×3, first 2 shown]
	scratch_load_dwordx4 v[22:25], off, off offset:2080 ; 16-byte Folded Reload
	v_mul_f64 v[6:7], v[208:209], v[4:5]
	s_waitcnt vmcnt(1)
	v_mul_f64 v[4:5], v[16:17], v[6:7]
	v_accvgpr_write_b32 a0, v6
	v_accvgpr_write_b32 a1, v7
	scratch_store_dwordx2 off, v[80:81], off offset:1640 ; 8-byte Folded Spill
	s_waitcnt vmcnt(1)
	v_fmac_f64_e32 v[0:1], v[4:5], v[24:25]
	v_mul_f64 v[4:5], v[142:143], v[2:3]
	v_accvgpr_write_b32 a95, v25
	scratch_store_dwordx2 off, v[4:5], off offset:792 ; 8-byte Folded Spill
	v_mul_f64 v[4:5], v[14:15], v[4:5]
	v_accvgpr_write_b32 a94, v24
	v_accvgpr_write_b32 a93, v23
	;; [unrolled: 1-line block ×3, first 2 shown]
	v_mul_f64 v[22:23], v[28:29], v[4:5]
	v_mul_f64 v[6:7], v[12:13], v[22:23]
	v_mov_b64_e32 v[86:87], v[22:23]
	scratch_load_dwordx4 v[22:25], off, off ; 16-byte Folded Reload
	v_mul_f64 v[84:85], v[42:43], v[4:5]
	v_accvgpr_write_b32 a18, v86
	v_accvgpr_write_b32 a19, v87
	s_waitcnt vmcnt(0)
	v_mov_b64_e32 v[34:35], v[24:25]
	v_mov_b64_e32 v[32:33], v[22:23]
	v_mul_f64 v[22:23], v[30:31], v[4:5]
	v_accvgpr_write_b32 a113, v23
	v_fmac_f64_e32 v[0:1], v[6:7], v[24:25]
	v_mul_f64 v[6:7], v[14:15], v[22:23]
	v_accvgpr_write_b32 a112, v22
	scratch_load_dwordx4 v[22:25], off, off offset:2096 ; 16-byte Folded Reload
	s_waitcnt vmcnt(0)
	v_accvgpr_write_b32 a20, v22
	v_accvgpr_write_b32 a21, v23
	;; [unrolled: 1-line block ×4, first 2 shown]
	v_mul_f64 v[22:23], v[40:41], v[4:5]
	v_accvgpr_write_b32 a111, v23
	v_fmac_f64_e32 v[0:1], v[6:7], v[24:25]
	v_mul_f64 v[6:7], v[8:9], v[22:23]
	v_accvgpr_write_b32 a110, v22
	scratch_load_dwordx4 v[22:25], off, off offset:2112 ; 16-byte Folded Reload
	v_mul_f64 v[4:5], v[208:209], v[4:5]
	scratch_store_dwordx2 off, v[4:5], off offset:96 ; 8-byte Folded Spill
	v_mul_f64 v[4:5], v[16:17], v[4:5]
	s_waitcnt vmcnt(1)
	v_accvgpr_write_b32 a27, v25
	v_fmac_f64_e32 v[0:1], v[6:7], v[24:25]
	v_accvgpr_write_b32 a26, v24
	v_accvgpr_write_b32 a25, v23
	;; [unrolled: 1-line block ×3, first 2 shown]
	scratch_load_dwordx4 v[22:25], off, off offset:2128 ; 16-byte Folded Reload
	v_mul_f64 v[6:7], v[10:11], v[84:85]
	s_waitcnt vmcnt(0)
	v_accvgpr_write_b32 a31, v25
	v_fmac_f64_e32 v[0:1], v[6:7], v[24:25]
	v_accvgpr_write_b32 a30, v24
	v_accvgpr_write_b32 a29, v23
	;; [unrolled: 1-line block ×3, first 2 shown]
	scratch_load_dwordx4 v[22:25], off, off offset:2144 ; 16-byte Folded Reload
	s_waitcnt vmcnt(0)
	v_accvgpr_write_b32 a14, v22
	v_fmac_f64_e32 v[0:1], v[4:5], v[24:25]
	v_accvgpr_write_b32 a15, v23
	v_accvgpr_write_b32 a16, v24
	v_accvgpr_write_b32 a17, v25
	scratch_load_dwordx4 v[22:25], off, off offset:592 ; 16-byte Folded Reload
	s_waitcnt vmcnt(0)
	v_mov_b64_e32 v[50:51], v[24:25]
	v_mul_f64 v[4:5], v[22:23], v[2:3]
	v_mov_b64_e32 v[48:49], v[22:23]
	scratch_load_dwordx4 v[22:25], off, off offset:16 ; 16-byte Folded Reload
	v_mov_b64_e32 v[54:55], v[50:51]
	scratch_store_dwordx2 off, v[4:5], off offset:824 ; 8-byte Folded Spill
	v_mul_f64 v[4:5], v[8:9], v[4:5]
	v_mul_f64 v[6:7], v[28:29], v[4:5]
	scratch_store_dwordx2 off, v[6:7], off offset:320 ; 8-byte Folded Spill
	v_mul_f64 v[6:7], v[12:13], v[6:7]
	v_mov_b64_e32 v[52:53], v[48:49]
	v_mov_b64_e32 v[136:137], v[54:55]
	;; [unrolled: 1-line block ×3, first 2 shown]
	s_waitcnt vmcnt(2)
	v_mov_b64_e32 v[90:91], v[24:25]
	v_fmac_f64_e32 v[0:1], v[6:7], v[24:25]
	v_mov_b64_e32 v[88:89], v[22:23]
	v_mul_f64 v[6:7], v[30:31], v[4:5]
	v_mul_f64 v[22:23], v[40:41], v[4:5]
	scratch_store_dwordx2 off, v[6:7], off offset:352 ; 8-byte Folded Spill
	v_mul_f64 v[6:7], v[14:15], v[6:7]
	v_accvgpr_write_b32 a107, v23
	v_fmac_f64_e32 v[0:1], v[6:7], v[118:119]
	v_mul_f64 v[6:7], v[8:9], v[22:23]
	v_accvgpr_write_b32 a106, v22
	v_mul_f64 v[22:23], v[42:43], v[4:5]
	v_accvgpr_write_b32 a105, v23
	v_fmac_f64_e32 v[0:1], v[6:7], v[130:131]
	v_mul_f64 v[6:7], v[10:11], v[22:23]
	v_accvgpr_write_b32 a104, v22
	scratch_load_dwordx4 v[22:25], off, off offset:2192 ; 16-byte Folded Reload
	v_mul_f64 v[4:5], v[208:209], v[4:5]
	scratch_store_dwordx2 off, v[4:5], off offset:336 ; 8-byte Folded Spill
	v_mul_f64 v[4:5], v[16:17], v[4:5]
	s_waitcnt vmcnt(1)
	v_accvgpr_write_b32 a35, v25
	v_fmac_f64_e32 v[0:1], v[6:7], v[24:25]
	v_accvgpr_write_b32 a34, v24
	v_accvgpr_write_b32 a33, v23
	;; [unrolled: 1-line block ×3, first 2 shown]
	scratch_load_dwordx4 v[22:25], off, off offset:2224 ; 16-byte Folded Reload
	v_fmac_f64_e32 v[0:1], v[4:5], v[126:127]
	v_mul_f64 v[4:5], v[50:51], v[2:3]
	scratch_store_dwordx2 off, v[4:5], off offset:856 ; 8-byte Folded Spill
	v_mul_f64 v[4:5], v[10:11], v[4:5]
	v_mul_f64 v[6:7], v[28:29], v[4:5]
	scratch_store_dwordx2 off, v[6:7], off offset:368 ; 8-byte Folded Spill
	v_mul_f64 v[6:7], v[12:13], v[6:7]
	scratch_load_dwordx4 v[48:51], off, off offset:632 ; 16-byte Folded Reload
	s_waitcnt vmcnt(3)
	v_mov_b64_e32 v[94:95], v[24:25]
	v_fmac_f64_e32 v[0:1], v[6:7], v[24:25]
	v_mov_b64_e32 v[92:93], v[22:23]
	scratch_load_dwordx4 v[22:25], off, off offset:2256 ; 16-byte Folded Reload
	v_mul_f64 v[6:7], v[30:31], v[4:5]
	scratch_store_dwordx2 off, v[6:7], off offset:384 ; 8-byte Folded Spill
	v_mul_f64 v[6:7], v[14:15], v[6:7]
	v_fmac_f64_e32 v[0:1], v[6:7], v[114:115]
	v_mul_f64 v[6:7], v[40:41], v[4:5]
	scratch_store_dwordx2 off, v[6:7], off offset:416 ; 8-byte Folded Spill
	v_mul_f64 v[6:7], v[8:9], v[6:7]
	v_accvgpr_write_b32 a52, v92
	v_accvgpr_write_b32 a53, v93
	;; [unrolled: 1-line block ×4, first 2 shown]
	s_waitcnt vmcnt(2)
	v_accvgpr_write_b32 a117, v25
	v_fmac_f64_e32 v[0:1], v[6:7], v[24:25]
	v_accvgpr_write_b32 a116, v24
	v_accvgpr_write_b32 a115, v23
	;; [unrolled: 1-line block ×3, first 2 shown]
	scratch_load_dwordx4 v[22:25], off, off offset:32 ; 16-byte Folded Reload
	v_mul_f64 v[6:7], v[42:43], v[4:5]
	scratch_store_dwordx2 off, v[6:7], off offset:400 ; 8-byte Folded Spill
	v_mul_f64 v[6:7], v[10:11], v[6:7]
	v_mul_f64 v[4:5], v[208:209], v[4:5]
	v_fmac_f64_e32 v[0:1], v[6:7], v[46:47]
	scratch_store_dwordx2 off, v[4:5], off offset:432 ; 8-byte Folded Spill
	v_mul_f64 v[4:5], v[16:17], v[4:5]
	s_waitcnt vmcnt(2)
	v_fmac_f64_e32 v[0:1], v[4:5], v[24:25]
	scratch_load_dwordx2 v[4:5], off, off offset:608 ; 8-byte Folded Reload
	scratch_load_dwordx4 v[24:27], off, off offset:2288 ; 16-byte Folded Reload
	s_waitcnt vmcnt(1)
	v_mul_f64 v[2:3], v[4:5], v[2:3]
	scratch_store_dwordx2 off, v[2:3], off offset:872 ; 8-byte Folded Spill
	v_mul_f64 v[2:3], v[16:17], v[2:3]
	v_mov_b64_e32 v[22:23], v[4:5]
	v_mul_f64 v[4:5], v[28:29], v[2:3]
	scratch_store_dwordx2 off, v[4:5], off offset:256 ; 8-byte Folded Spill
	v_mul_f64 v[4:5], v[12:13], v[4:5]
	s_waitcnt vmcnt(2)
	v_mov_b64_e32 v[102:103], v[26:27]
	v_fmac_f64_e32 v[0:1], v[4:5], v[26:27]
	v_mov_b64_e32 v[100:101], v[24:25]
	scratch_load_dwordx4 v[24:27], off, off offset:2304 ; 16-byte Folded Reload
	v_mul_f64 v[4:5], v[30:31], v[2:3]
	scratch_store_dwordx2 off, v[4:5], off offset:192 ; 8-byte Folded Spill
	v_mul_f64 v[4:5], v[14:15], v[4:5]
	s_waitcnt vmcnt(1)
	v_mov_b64_e32 v[98:99], v[26:27]
	v_fmac_f64_e32 v[0:1], v[4:5], v[26:27]
	v_mov_b64_e32 v[96:97], v[24:25]
	scratch_load_dwordx4 v[24:27], off, off offset:2320 ; 16-byte Folded Reload
	v_mul_f64 v[4:5], v[40:41], v[2:3]
	scratch_store_dwordx2 off, v[4:5], off offset:448 ; 8-byte Folded Spill
	v_mul_f64 v[4:5], v[8:9], v[4:5]
	s_waitcnt vmcnt(1)
	v_accvgpr_write_b32 a51, v27
	v_fmac_f64_e32 v[0:1], v[4:5], v[26:27]
	v_accvgpr_write_b32 a50, v26
	v_accvgpr_write_b32 a49, v25
	;; [unrolled: 1-line block ×3, first 2 shown]
	scratch_load_dwordx4 v[24:27], off, off offset:48 ; 16-byte Folded Reload
	v_mul_f64 v[4:5], v[42:43], v[2:3]
	scratch_store_dwordx2 off, v[4:5], off offset:464 ; 8-byte Folded Spill
	v_mul_f64 v[4:5], v[10:11], v[4:5]
	v_mul_f64 v[2:3], v[208:209], v[2:3]
	scratch_store_dwordx2 off, v[2:3], off offset:480 ; 8-byte Folded Spill
	v_mul_f64 v[2:3], v[16:17], v[2:3]
	s_waitcnt vmcnt(2)
	v_fmac_f64_e32 v[0:1], v[4:5], v[26:27]
	scratch_load_dwordx4 v[4:7], off, off offset:2336 ; 16-byte Folded Reload
	s_waitcnt vmcnt(0)
	v_fmac_f64_e32 v[0:1], v[2:3], v[6:7]
	v_mul_f64 v[2:3], v[18:19], v[20:21]
	scratch_load_dwordx4 v[18:21], off, off offset:2352 ; 16-byte Folded Reload
	v_accvgpr_write_b32 a145, v7
	v_accvgpr_write_b32 a144, v6
	;; [unrolled: 1-line block ×4, first 2 shown]
	v_mul_f64 v[4:5], v[140:141], v[2:3]
	scratch_store_dwordx2 off, v[4:5], off offset:888 ; 8-byte Folded Spill
	v_mul_f64 v[4:5], v[12:13], v[4:5]
	v_mul_f64 v[6:7], v[28:29], v[4:5]
	scratch_store_dwordx2 off, v[6:7], off offset:512 ; 8-byte Folded Spill
	v_mul_f64 v[6:7], v[12:13], v[6:7]
	s_waitcnt vmcnt(2)
	v_mov_b64_e32 v[106:107], v[20:21]
	v_fmac_f64_e32 v[0:1], v[20:21], v[6:7]
	v_mov_b64_e32 v[104:105], v[18:19]
	scratch_load_dwordx4 v[18:21], off, off offset:64 ; 16-byte Folded Reload
	v_mul_f64 v[6:7], v[30:31], v[4:5]
	scratch_store_dwordx2 off, v[6:7], off offset:496 ; 8-byte Folded Spill
	v_mul_f64 v[6:7], v[14:15], v[6:7]
	s_waitcnt vmcnt(1)
	v_fmac_f64_e32 v[0:1], v[20:21], v[6:7]
	scratch_load_dwordx4 v[18:21], off, off offset:80 ; 16-byte Folded Reload
	v_mul_f64 v[6:7], v[40:41], v[4:5]
	scratch_store_dwordx2 off, v[6:7], off offset:528 ; 8-byte Folded Spill
	v_mul_f64 v[6:7], v[8:9], v[6:7]
	s_waitcnt vmcnt(1)
	v_fmac_f64_e32 v[0:1], v[20:21], v[6:7]
	scratch_load_dwordx4 v[18:21], off, off offset:2368 ; 16-byte Folded Reload
	v_mul_f64 v[6:7], v[42:43], v[4:5]
	scratch_store_dwordx2 off, v[6:7], off offset:304 ; 8-byte Folded Spill
	v_mul_f64 v[6:7], v[10:11], v[6:7]
	v_mul_f64 v[4:5], v[208:209], v[4:5]
	scratch_store_dwordx2 off, v[4:5], off offset:288 ; 8-byte Folded Spill
	v_mul_f64 v[4:5], v[16:17], v[4:5]
	s_waitcnt vmcnt(2)
	v_mov_b64_e32 v[148:149], v[20:21]
	v_fmac_f64_e32 v[0:1], v[20:21], v[6:7]
	v_mov_b64_e32 v[146:147], v[18:19]
	scratch_load_dwordx4 v[18:21], off, off offset:2384 ; 16-byte Folded Reload
	s_waitcnt vmcnt(0)
	v_accvgpr_write_b32 a165, v21
	v_fmac_f64_e32 v[0:1], v[4:5], v[20:21]
	v_accvgpr_write_b32 a164, v20
	v_accvgpr_write_b32 a163, v19
	;; [unrolled: 1-line block ×3, first 2 shown]
	scratch_load_dwordx4 v[18:21], off, off offset:2400 ; 16-byte Folded Reload
	v_mul_f64 v[4:5], v[142:143], v[2:3]
	scratch_store_dwordx2 off, v[4:5], off offset:904 ; 8-byte Folded Spill
	v_mul_f64 v[4:5], v[14:15], v[4:5]
	v_mul_f64 v[6:7], v[28:29], v[4:5]
	scratch_store_dwordx2 off, v[6:7], off offset:544 ; 8-byte Folded Spill
	v_mul_f64 v[6:7], v[12:13], v[6:7]
	v_mul_f64 v[132:133], v[208:209], v[4:5]
	scratch_store_dwordx2 off, v[132:133], off offset:1656 ; 8-byte Folded Spill
	s_waitcnt vmcnt(3)
	v_mov_b64_e32 v[110:111], v[20:21]
	v_fmac_f64_e32 v[0:1], v[6:7], v[20:21]
	v_mov_b64_e32 v[108:109], v[18:19]
	v_mul_f64 v[6:7], v[30:31], v[4:5]
	v_mul_f64 v[18:19], v[40:41], v[4:5]
	scratch_store_dwordx2 off, v[6:7], off offset:560 ; 8-byte Folded Spill
	v_mul_f64 v[6:7], v[14:15], v[6:7]
	v_accvgpr_write_b32 a147, v19
	v_fmac_f64_e32 v[0:1], v[6:7], v[122:123]
	v_mul_f64 v[6:7], v[8:9], v[18:19]
	v_accvgpr_write_b32 a146, v18
	scratch_load_dwordx4 v[18:21], off, off offset:2432 ; 16-byte Folded Reload
	s_waitcnt vmcnt(0)
	v_accvgpr_write_b32 a59, v21
	v_accvgpr_write_b32 a58, v20
	;; [unrolled: 1-line block ×4, first 2 shown]
	v_mul_f64 v[18:19], v[42:43], v[4:5]
	v_accvgpr_write_b32 a161, v19
	v_fmac_f64_e32 v[0:1], v[6:7], v[20:21]
	v_mul_f64 v[6:7], v[10:11], v[18:19]
	v_accvgpr_write_b32 a160, v18
	scratch_load_dwordx4 v[18:21], off, off offset:2448 ; 16-byte Folded Reload
	v_mul_f64 v[4:5], v[16:17], v[132:133]
	s_waitcnt vmcnt(0)
	v_fmac_f64_e32 v[0:1], v[6:7], v[20:21]
	v_fmac_f64_e32 v[0:1], v[4:5], v[36:37]
	v_mul_f64 v[4:5], v[52:53], v[2:3]
	v_accvgpr_write_b32 a173, v21
	scratch_store_dwordx2 off, v[4:5], off offset:840 ; 8-byte Folded Spill
	v_mul_f64 v[4:5], v[8:9], v[4:5]
	v_accvgpr_write_b32 a172, v20
	v_accvgpr_write_b32 a171, v19
	;; [unrolled: 1-line block ×3, first 2 shown]
	v_mul_f64 v[18:19], v[28:29], v[4:5]
	v_mul_f64 v[6:7], v[12:13], v[18:19]
	v_mov_b64_e32 v[26:27], v[18:19]
	v_mul_f64 v[18:19], v[30:31], v[4:5]
	v_accvgpr_write_b32 a177, v19
	v_fmac_f64_e32 v[0:1], v[6:7], v[38:39]
	v_mul_f64 v[6:7], v[14:15], v[18:19]
	v_accvgpr_write_b32 a176, v18
	v_mul_f64 v[18:19], v[40:41], v[4:5]
	v_accvgpr_write_b32 a179, v19
	v_fmac_f64_e32 v[0:1], v[6:7], v[48:49]
	v_mul_f64 v[6:7], v[8:9], v[18:19]
	v_accvgpr_write_b32 a178, v18
	v_mul_f64 v[18:19], v[42:43], v[4:5]
	v_fmac_f64_e32 v[0:1], v[6:7], v[50:51]
	v_mul_f64 v[6:7], v[10:11], v[18:19]
	v_fmac_f64_e32 v[0:1], v[6:7], v[60:61]
	v_mul_f64 v[6:7], v[208:209], v[4:5]
	v_mul_f64 v[4:5], v[16:17], v[6:7]
	v_fmac_f64_e32 v[0:1], v[4:5], v[62:63]
	v_mul_f64 v[4:5], v[54:55], v[2:3]
	scratch_load_dwordx4 v[52:55], off, off offset:664 ; 16-byte Folded Reload
	v_accvgpr_write_b32 a181, v19
	scratch_store_dwordx2 off, v[4:5], off offset:808 ; 8-byte Folded Spill
	v_mul_f64 v[4:5], v[10:11], v[4:5]
	v_accvgpr_write_b32 a180, v18
	v_mul_f64 v[18:19], v[28:29], v[4:5]
	v_accvgpr_write_b32 a183, v7
	v_accvgpr_write_b32 a185, v19
	v_accvgpr_write_b32 a182, v6
	v_mul_f64 v[6:7], v[12:13], v[18:19]
	v_accvgpr_write_b32 a184, v18
	v_mul_f64 v[18:19], v[30:31], v[4:5]
	v_accvgpr_write_b32 a187, v19
	v_accvgpr_write_b32 a186, v18
	v_mul_f64 v[2:3], v[22:23], v[2:3]
	scratch_store_dwordx2 off, v[2:3], off offset:760 ; 8-byte Folded Spill
	v_mul_f64 v[2:3], v[16:17], v[2:3]
	scratch_store_dwordx2 off, v[26:27], off offset:1672 ; 8-byte Folded Spill
	s_waitcnt vmcnt(3)
	v_fmac_f64_e32 v[0:1], v[6:7], v[52:53]
	v_mul_f64 v[6:7], v[14:15], v[18:19]
	v_mul_f64 v[18:19], v[40:41], v[4:5]
	v_accvgpr_write_b32 a189, v19
	v_fmac_f64_e32 v[0:1], v[6:7], v[54:55]
	v_mul_f64 v[6:7], v[8:9], v[18:19]
	v_accvgpr_write_b32 a188, v18
	v_mul_f64 v[18:19], v[42:43], v[4:5]
	v_accvgpr_write_b32 a191, v19
	v_fmac_f64_e32 v[0:1], v[6:7], v[204:205]
	v_mul_f64 v[6:7], v[10:11], v[18:19]
	v_accvgpr_write_b32 a190, v18
	scratch_load_dwordx4 v[18:21], off, off offset:2040 ; 16-byte Folded Reload
	v_fmac_f64_e32 v[0:1], v[6:7], v[206:207]
	v_mul_f64 v[6:7], v[208:209], v[4:5]
	v_accvgpr_write_b32 a193, v7
	v_mul_f64 v[4:5], v[16:17], v[6:7]
	v_accvgpr_write_b32 a192, v6
	;; [unrolled: 2-line block ×3, first 2 shown]
	v_fmac_f64_e32 v[0:1], v[4:5], v[210:211]
	v_mul_f64 v[4:5], v[12:13], v[6:7]
	v_accvgpr_write_b32 a194, v6
	v_mul_f64 v[6:7], v[30:31], v[2:3]
	v_accvgpr_write_b32 a197, v7
	v_fmac_f64_e32 v[0:1], v[4:5], v[212:213]
	v_mul_f64 v[4:5], v[14:15], v[6:7]
	v_accvgpr_write_b32 a196, v6
	v_mul_f64 v[6:7], v[40:41], v[2:3]
	v_accvgpr_write_b32 a199, v7
	v_fmac_f64_e32 v[0:1], v[4:5], v[214:215]
	v_mul_f64 v[4:5], v[8:9], v[6:7]
	v_accvgpr_write_b32 a198, v6
	v_mul_f64 v[6:7], v[42:43], v[2:3]
	v_fmac_f64_e32 v[0:1], v[4:5], v[216:217]
	v_mul_f64 v[4:5], v[10:11], v[6:7]
	v_fmac_f64_e32 v[0:1], v[4:5], v[252:253]
	v_mul_f64 v[4:5], v[208:209], v[2:3]
	v_mul_f64 v[2:3], v[16:17], v[4:5]
	v_accvgpr_write_b32 a203, v5
	v_accvgpr_write_b32 a202, v4
	v_fmac_f64_e32 v[0:1], v[2:3], v[254:255]
	ds_read2_b64 v[2:5], v64 offset0:4 offset1:8
	v_accvgpr_write_b32 a201, v7
	v_accvgpr_write_b32 a200, v6
	s_waitcnt lgkmcnt(0)
	scratch_store_dwordx4 off, v[2:5], off offset:1852 ; 16-byte Folded Spill
	s_waitcnt vmcnt(1)
	s_nop 0
	v_mul_f64 v[2:3], v[18:19], v[4:5]
	v_mul_f64 v[4:5], v[140:141], v[2:3]
	;; [unrolled: 1-line block ×4, first 2 shown]
	v_accvgpr_write_b32 a205, v19
	v_mul_f64 v[6:7], v[12:13], v[18:19]
	v_accvgpr_write_b32 a204, v18
	v_mul_f64 v[18:19], v[30:31], v[4:5]
	v_accvgpr_write_b32 a207, v19
	v_fmac_f64_e32 v[0:1], v[238:239], v[6:7]
	v_mul_f64 v[6:7], v[14:15], v[18:19]
	v_accvgpr_write_b32 a206, v18
	v_mul_f64 v[18:19], v[40:41], v[4:5]
	v_accvgpr_write_b32 a209, v19
	v_fmac_f64_e32 v[0:1], v[240:241], v[6:7]
	v_mul_f64 v[6:7], v[8:9], v[18:19]
	v_accvgpr_write_b32 a208, v18
	v_mul_f64 v[18:19], v[42:43], v[4:5]
	v_fmac_f64_e32 v[0:1], v[230:231], v[6:7]
	v_mul_f64 v[6:7], v[10:11], v[18:19]
	v_fmac_f64_e32 v[0:1], v[232:233], v[6:7]
	v_mul_f64 v[6:7], v[208:209], v[4:5]
	v_mul_f64 v[4:5], v[16:17], v[6:7]
	v_fmac_f64_e32 v[0:1], v[4:5], v[68:69]
	v_mul_f64 v[4:5], v[142:143], v[2:3]
	v_accvgpr_write_b32 a213, v7
	v_mul_f64 v[4:5], v[14:15], v[4:5]
	v_accvgpr_write_b32 a212, v6
	v_mul_f64 v[6:7], v[28:29], v[4:5]
	scratch_store_dwordx2 off, v[6:7], off offset:1432 ; 8-byte Folded Spill
	v_mul_f64 v[6:7], v[12:13], v[6:7]
	v_fmac_f64_e32 v[0:1], v[6:7], v[70:71]
	scratch_load_dwordx4 v[68:71], off, off offset:2512 ; 16-byte Folded Reload
	v_mul_f64 v[6:7], v[30:31], v[4:5]
	scratch_store_dwordx2 off, v[6:7], off offset:1416 ; 8-byte Folded Spill
	v_mul_f64 v[6:7], v[14:15], v[6:7]
	v_accvgpr_write_b32 a211, v19
	v_fmac_f64_e32 v[0:1], v[6:7], v[168:169]
	v_mul_f64 v[6:7], v[40:41], v[4:5]
	v_accvgpr_write_b32 a210, v18
	scratch_store_dwordx2 off, v[6:7], off offset:1448 ; 8-byte Folded Spill
	v_mul_f64 v[6:7], v[8:9], v[6:7]
	v_mul_f64 v[18:19], v[42:43], v[4:5]
	v_fmac_f64_e32 v[0:1], v[6:7], v[170:171]
	v_mul_f64 v[6:7], v[10:11], v[18:19]
	scratch_load_dwordx4 v[168:171], off, off offset:2560 ; 16-byte Folded Reload
	v_accvgpr_write_b32 a233, v19
	v_accvgpr_write_b32 a232, v18
	s_waitcnt vmcnt(3)
	v_fmac_f64_e32 v[0:1], v[6:7], v[68:69]
	v_mul_f64 v[6:7], v[208:209], v[4:5]
	v_mul_f64 v[4:5], v[16:17], v[6:7]
	v_fmac_f64_e32 v[0:1], v[4:5], v[70:71]
	v_mul_f64 v[4:5], v[134:135], v[2:3]
	v_mul_f64 v[4:5], v[8:9], v[4:5]
	v_accvgpr_write_b32 a231, v7
	v_mul_f64 v[18:19], v[28:29], v[4:5]
	v_accvgpr_write_b32 a230, v6
	v_mul_f64 v[6:7], v[12:13], v[18:19]
	v_fmac_f64_e32 v[0:1], v[6:7], v[184:185]
	v_mul_f64 v[6:7], v[30:31], v[4:5]
	scratch_store_dwordx2 off, v[6:7], off offset:1336 ; 8-byte Folded Spill
	v_mul_f64 v[6:7], v[14:15], v[6:7]
	v_fmac_f64_e32 v[0:1], v[6:7], v[186:187]
	scratch_load_dwordx4 v[184:187], off, off offset:2576 ; 16-byte Folded Reload
	v_accvgpr_write_b32 a229, v19
	v_mul_f64 v[6:7], v[40:41], v[4:5]
	v_accvgpr_write_b32 a228, v18
	scratch_store_dwordx2 off, v[6:7], off offset:1320 ; 8-byte Folded Spill
	v_mul_f64 v[6:7], v[8:9], v[6:7]
	v_mul_f64 v[18:19], v[42:43], v[4:5]
	v_fmac_f64_e32 v[0:1], v[6:7], v[150:151]
	v_mul_f64 v[6:7], v[10:11], v[18:19]
	v_fmac_f64_e32 v[0:1], v[6:7], v[152:153]
	scratch_load_dwordx4 v[150:153], off, off offset:2616 ; 16-byte Folded Reload
	v_mul_f64 v[6:7], v[208:209], v[4:5]
	v_mul_f64 v[4:5], v[16:17], v[6:7]
	s_waitcnt vmcnt(4)
	v_fmac_f64_e32 v[0:1], v[4:5], v[168:169]
	v_mul_f64 v[4:5], v[136:137], v[2:3]
	v_accvgpr_write_b32 a235, v19
	v_mul_f64 v[4:5], v[10:11], v[4:5]
	v_accvgpr_write_b32 a234, v18
	;; [unrolled: 2-line block ×3, first 2 shown]
	v_accvgpr_write_b32 a239, v19
	v_accvgpr_write_b32 a236, v6
	v_mul_f64 v[6:7], v[12:13], v[18:19]
	v_accvgpr_write_b32 a238, v18
	v_mul_f64 v[18:19], v[30:31], v[4:5]
	v_accvgpr_write_b32 a241, v19
	v_fmac_f64_e32 v[0:1], v[6:7], v[170:171]
	v_mul_f64 v[6:7], v[14:15], v[18:19]
	v_accvgpr_write_b32 a240, v18
	v_mul_f64 v[18:19], v[40:41], v[4:5]
	v_accvgpr_write_b32 a243, v19
	v_accvgpr_write_b32 a242, v18
	v_mul_f64 v[2:3], v[22:23], v[2:3]
	v_mul_f64 v[2:3], v[16:17], v[2:3]
	v_accvgpr_write_b32 a227, v71
	v_accvgpr_write_b32 a226, v70
	;; [unrolled: 1-line block ×4, first 2 shown]
	s_waitcnt vmcnt(2)
	v_fmac_f64_e32 v[0:1], v[6:7], v[184:185]
	v_mul_f64 v[6:7], v[8:9], v[18:19]
	v_mul_f64 v[18:19], v[42:43], v[4:5]
	v_fmac_f64_e32 v[0:1], v[6:7], v[186:187]
	v_mul_f64 v[6:7], v[10:11], v[18:19]
	v_fmac_f64_e32 v[0:1], v[6:7], v[164:165]
	v_mul_f64 v[6:7], v[208:209], v[4:5]
	v_accvgpr_write_b32 a247, v7
	v_mul_f64 v[4:5], v[16:17], v[6:7]
	v_accvgpr_write_b32 a246, v6
	v_mul_f64 v[6:7], v[28:29], v[2:3]
	v_fmac_f64_e32 v[0:1], v[4:5], v[166:167]
	v_mul_f64 v[4:5], v[12:13], v[6:7]
	s_waitcnt vmcnt(0)
	v_fmac_f64_e32 v[0:1], v[4:5], v[150:151]
	v_mul_f64 v[4:5], v[30:31], v[2:3]
	scratch_store_dwordx2 off, v[4:5], off offset:1464 ; 8-byte Folded Spill
	v_mul_f64 v[4:5], v[14:15], v[4:5]
	v_accvgpr_write_b32 a253, v153
	v_fmac_f64_e32 v[0:1], v[4:5], v[152:153]
	v_accvgpr_write_b32 a252, v152
	v_accvgpr_write_b32 a251, v151
	;; [unrolled: 1-line block ×3, first 2 shown]
	scratch_load_dwordx4 v[152:155], off, off offset:2648 ; 16-byte Folded Reload
	v_accvgpr_write_b32 a249, v7
	v_mul_f64 v[4:5], v[40:41], v[2:3]
	v_accvgpr_write_b32 a248, v6
	scratch_store_dwordx2 off, v[4:5], off offset:1288 ; 8-byte Folded Spill
	v_mul_f64 v[4:5], v[8:9], v[4:5]
	v_mul_f64 v[6:7], v[42:43], v[2:3]
	v_fmac_f64_e32 v[0:1], v[4:5], v[160:161]
	v_mul_f64 v[4:5], v[10:11], v[6:7]
	v_fmac_f64_e32 v[0:1], v[4:5], v[162:163]
	v_mul_f64 v[4:5], v[208:209], v[2:3]
	v_mul_f64 v[2:3], v[16:17], v[4:5]
	v_accvgpr_write_b32 a83, v5
	v_accvgpr_write_b32 a82, v4
	;; [unrolled: 1-line block ×6, first 2 shown]
	s_waitcnt vmcnt(1)
	v_fmac_f64_e32 v[0:1], v[2:3], v[152:153]
	ds_read2_b64 v[2:5], v64 offset0:8 offset1:12
	s_waitcnt lgkmcnt(0)
	scratch_store_dwordx4 off, v[2:5], off offset:1836 ; 16-byte Folded Spill
	scratch_store_dword off, v64, off offset:1816 ; 4-byte Folded Spill
	scratch_load_dwordx4 v[160:163], off, off offset:2664 ; 16-byte Folded Reload
	scratch_load_dwordx4 v[164:167], off, off offset:2760 ; 16-byte Folded Reload
	v_mul_f64 v[2:3], v[20:21], v[4:5]
	v_mul_f64 v[4:5], v[140:141], v[2:3]
	;; [unrolled: 1-line block ×4, first 2 shown]
	scratch_store_dwordx2 off, v[6:7], off offset:1000 ; 8-byte Folded Spill
	v_mul_f64 v[6:7], v[12:13], v[6:7]
	v_fmac_f64_e32 v[0:1], v[154:155], v[6:7]
	v_mul_f64 v[6:7], v[30:31], v[4:5]
	scratch_store_dwordx2 off, v[6:7], off offset:1032 ; 8-byte Folded Spill
	v_mul_f64 v[6:7], v[14:15], v[6:7]
	v_accvgpr_write_b32 a6, v152
	v_accvgpr_write_b32 a7, v153
	;; [unrolled: 1-line block ×4, first 2 shown]
	scratch_load_dwordx4 v[152:155], off, off offset:2696 ; 16-byte Folded Reload
	scratch_load_dwordx4 v[156:159], off, off offset:2792 ; 16-byte Folded Reload
	;; [unrolled: 1-line block ×15, first 2 shown]
	s_waitcnt vmcnt(18)
	v_fmac_f64_e32 v[0:1], v[160:161], v[6:7]
	v_mul_f64 v[6:7], v[40:41], v[4:5]
	scratch_store_dwordx2 off, v[6:7], off offset:920 ; 8-byte Folded Spill
	v_mul_f64 v[6:7], v[8:9], v[6:7]
	v_accvgpr_write_b32 a74, v160
	v_fmac_f64_e32 v[0:1], v[162:163], v[6:7]
	v_accvgpr_write_b32 a75, v161
	v_accvgpr_write_b32 a76, v162
	;; [unrolled: 1-line block ×3, first 2 shown]
	scratch_load_dwordx4 v[160:163], off, off offset:2680 ; 16-byte Folded Reload
	v_mul_f64 v[6:7], v[42:43], v[4:5]
	scratch_store_dwordx2 off, v[6:7], off offset:936 ; 8-byte Folded Spill
	v_mul_f64 v[6:7], v[10:11], v[6:7]
	v_mul_f64 v[4:5], v[208:209], v[4:5]
	scratch_store_dwordx2 off, v[4:5], off offset:952 ; 8-byte Folded Spill
	v_mul_f64 v[4:5], v[16:17], v[4:5]
	s_waitcnt vmcnt(18)
	v_accvgpr_write_b32 a70, v152
	v_accvgpr_write_b32 a71, v153
	;; [unrolled: 1-line block ×8, first 2 shown]
	s_waitcnt vmcnt(2)
	v_fmac_f64_e32 v[0:1], v[160:161], v[6:7]
	v_accvgpr_write_b32 a2, v160
	v_fmac_f64_e32 v[0:1], v[4:5], v[162:163]
	v_accvgpr_write_b32 a3, v161
	v_accvgpr_write_b32 a4, v162
	;; [unrolled: 1-line block ×3, first 2 shown]
	scratch_load_dwordx4 v[160:163], off, off offset:2712 ; 16-byte Folded Reload
	v_mul_f64 v[4:5], v[142:143], v[2:3]
	v_mul_f64 v[4:5], v[14:15], v[4:5]
	;; [unrolled: 1-line block ×3, first 2 shown]
	scratch_store_dwordx2 off, v[6:7], off offset:968 ; 8-byte Folded Spill
	v_mul_f64 v[6:7], v[12:13], v[6:7]
	v_fmac_f64_e32 v[0:1], v[6:7], v[152:153]
	v_mul_f64 v[6:7], v[30:31], v[4:5]
	scratch_store_dwordx2 off, v[6:7], off offset:984 ; 8-byte Folded Spill
	v_mul_f64 v[6:7], v[14:15], v[6:7]
	v_fmac_f64_e32 v[0:1], v[6:7], v[154:155]
	scratch_load_dwordx4 v[152:155], off, off offset:2728 ; 16-byte Folded Reload
	v_mul_f64 v[6:7], v[40:41], v[4:5]
	scratch_store_dwordx2 off, v[6:7], off offset:1016 ; 8-byte Folded Spill
	v_mul_f64 v[6:7], v[8:9], v[6:7]
	v_mul_f64 v[18:19], v[42:43], v[4:5]
	;; [unrolled: 1-line block ×3, first 2 shown]
	scratch_store_dwordx2 off, v[4:5], off offset:1064 ; 8-byte Folded Spill
	v_mul_f64 v[4:5], v[16:17], v[4:5]
	v_accvgpr_write_b32 a119, v19
	v_accvgpr_write_b32 a118, v18
	s_waitcnt vmcnt(5)
	v_fmac_f64_e32 v[0:1], v[6:7], v[160:161]
	v_mul_f64 v[6:7], v[10:11], v[18:19]
	v_accvgpr_write_b32 a100, v160
	v_fmac_f64_e32 v[0:1], v[6:7], v[162:163]
	v_accvgpr_write_b32 a101, v161
	v_accvgpr_write_b32 a102, v162
	;; [unrolled: 1-line block ×3, first 2 shown]
	scratch_load_dwordx4 v[160:163], off, off offset:2744 ; 16-byte Folded Reload
	s_waitcnt vmcnt(3)
	v_fmac_f64_e32 v[0:1], v[4:5], v[152:153]
	v_mul_f64 v[4:5], v[134:135], v[2:3]
	v_mul_f64 v[4:5], v[8:9], v[4:5]
	;; [unrolled: 1-line block ×3, first 2 shown]
	scratch_store_dwordx2 off, v[6:7], off offset:1048 ; 8-byte Folded Spill
	v_mul_f64 v[6:7], v[12:13], v[6:7]
	v_accvgpr_write_b32 a88, v152
	v_fmac_f64_e32 v[0:1], v[6:7], v[154:155]
	v_accvgpr_write_b32 a89, v153
	v_accvgpr_write_b32 a90, v154
	;; [unrolled: 1-line block ×3, first 2 shown]
	scratch_load_dwordx4 v[152:155], off, off offset:2776 ; 16-byte Folded Reload
	v_mul_f64 v[6:7], v[30:31], v[4:5]
	scratch_store_dwordx2 off, v[6:7], off offset:1304 ; 8-byte Folded Spill
	v_mul_f64 v[6:7], v[14:15], v[6:7]
	v_mul_f64 v[138:139], v[208:209], v[4:5]
	s_waitcnt vmcnt(3)
	v_fmac_f64_e32 v[0:1], v[6:7], v[160:161]
	v_mul_f64 v[6:7], v[40:41], v[4:5]
	scratch_store_dwordx2 off, v[6:7], off offset:1208 ; 8-byte Folded Spill
	v_mul_f64 v[6:7], v[8:9], v[6:7]
	v_accvgpr_write_b32 a156, v160
	v_fmac_f64_e32 v[0:1], v[6:7], v[162:163]
	v_accvgpr_write_b32 a157, v161
	v_accvgpr_write_b32 a158, v162
	;; [unrolled: 1-line block ×3, first 2 shown]
	scratch_load_dwordx4 v[160:163], off, off offset:2808 ; 16-byte Folded Reload
	v_mul_f64 v[6:7], v[42:43], v[4:5]
	scratch_store_dwordx2 off, v[6:7], off offset:1240 ; 8-byte Folded Spill
	v_mul_f64 v[6:7], v[10:11], v[6:7]
	v_fmac_f64_e32 v[0:1], v[6:7], v[164:165]
	v_mul_f64 v[4:5], v[16:17], v[138:139]
	v_fmac_f64_e32 v[0:1], v[4:5], v[166:167]
	scratch_load_dwordx4 v[164:167], off, off offset:2824 ; 16-byte Folded Reload
	v_mul_f64 v[4:5], v[136:137], v[2:3]
	v_mul_f64 v[4:5], v[10:11], v[4:5]
	;; [unrolled: 1-line block ×3, first 2 shown]
	scratch_store_dwordx2 off, v[6:7], off offset:144 ; 8-byte Folded Spill
	v_mul_f64 v[6:7], v[12:13], v[6:7]
	s_waitcnt vmcnt(6)
	v_fmac_f64_e32 v[0:1], v[6:7], v[152:153]
	v_mul_f64 v[6:7], v[30:31], v[4:5]
	scratch_store_dwordx2 off, v[6:7], off offset:160 ; 8-byte Folded Spill
	v_mul_f64 v[6:7], v[14:15], v[6:7]
	v_fmac_f64_e32 v[0:1], v[6:7], v[154:155]
	v_mul_f64 v[6:7], v[40:41], v[4:5]
	scratch_store_dwordx2 off, v[6:7], off offset:176 ; 8-byte Folded Spill
	v_mul_f64 v[6:7], v[8:9], v[6:7]
	;; [unrolled: 4-line block ×3, first 2 shown]
	v_mul_f64 v[4:5], v[208:209], v[4:5]
	v_mul_f64 v[2:3], v[22:23], v[2:3]
	v_fmac_f64_e32 v[0:1], v[6:7], v[158:159]
	scratch_store_dwordx2 off, v[4:5], off offset:208 ; 8-byte Folded Spill
	v_mul_f64 v[4:5], v[16:17], v[4:5]
	v_mul_f64 v[2:3], v[16:17], v[2:3]
	;; [unrolled: 1-line block ×3, first 2 shown]
	v_accvgpr_write_b32 a127, v7
	v_accvgpr_write_b32 a126, v6
	scratch_store_dwordx2 off, a[126:127], off offset:1752 ; 8-byte Folded Spill
	s_waitcnt vmcnt(8)
	v_fmac_f64_e32 v[0:1], v[4:5], v[160:161]
	v_mul_f64 v[4:5], v[28:29], v[2:3]
	scratch_store_dwordx2 off, v[4:5], off offset:272 ; 8-byte Folded Spill
	v_mul_f64 v[4:5], v[12:13], v[4:5]
	v_fmac_f64_e32 v[0:1], v[4:5], v[162:163]
	v_mul_f64 v[4:5], v[30:31], v[2:3]
	scratch_store_dwordx2 off, v[4:5], off offset:240 ; 8-byte Folded Spill
	v_mul_f64 v[4:5], v[14:15], v[4:5]
	s_waitcnt vmcnt(8)
	v_fmac_f64_e32 v[0:1], v[4:5], v[164:165]
	v_mul_f64 v[4:5], v[8:9], v[6:7]
	v_mul_f64 v[6:7], v[42:43], v[2:3]
	v_fmac_f64_e32 v[0:1], v[4:5], v[166:167]
	v_mul_f64 v[4:5], v[10:11], v[6:7]
	v_fmac_f64_e32 v[0:1], v[4:5], v[172:173]
	v_mul_f64 v[4:5], v[208:209], v[2:3]
	v_mul_f64 v[2:3], v[16:17], v[4:5]
	v_accvgpr_write_b32 a43, v5
	v_accvgpr_write_b32 a42, v4
	v_fmac_f64_e32 v[0:1], v[2:3], v[174:175]
	ds_read2_b64 v[2:5], v64 offset0:12 offset1:16
	v_accvgpr_write_b32 a41, v7
	v_accvgpr_write_b32 a40, v6
	scratch_store_dwordx2 off, a[40:41], off offset:1688 ; 8-byte Folded Spill
	scratch_store_dwordx2 off, a[42:43], off offset:1704 ; 8-byte Folded Spill
	s_waitcnt lgkmcnt(0)
	scratch_store_dwordx4 off, v[2:5], off offset:1820 ; 16-byte Folded Spill
	scratch_load_dwordx2 v[2:3], off, off offset:1952 ; 8-byte Folded Reload
	s_waitcnt vmcnt(0)
	v_mul_f64 v[2:3], v[2:3], v[4:5]
	v_mul_f64 v[4:5], v[140:141], v[2:3]
	;; [unrolled: 1-line block ×4, first 2 shown]
	v_accvgpr_write_b32 a109, v19
	v_mul_f64 v[6:7], v[12:13], v[18:19]
	v_accvgpr_write_b32 a108, v18
	v_mul_f64 v[18:19], v[30:31], v[4:5]
	v_fmac_f64_e32 v[0:1], v[176:177], v[6:7]
	v_mul_f64 v[6:7], v[14:15], v[18:19]
	v_fmac_f64_e32 v[0:1], v[178:179], v[6:7]
	v_mul_f64 v[6:7], v[40:41], v[4:5]
	scratch_store_dwordx2 off, v[6:7], off offset:1224 ; 8-byte Folded Spill
	v_mul_f64 v[6:7], v[8:9], v[6:7]
	v_fmac_f64_e32 v[0:1], v[180:181], v[6:7]
	v_mul_f64 v[6:7], v[42:43], v[4:5]
	scratch_store_dwordx2 off, v[6:7], off offset:1176 ; 8-byte Folded Spill
	v_mul_f64 v[6:7], v[10:11], v[6:7]
	v_mul_f64 v[4:5], v[208:209], v[4:5]
	v_fmac_f64_e32 v[0:1], v[182:183], v[6:7]
	scratch_store_dwordx2 off, v[4:5], off offset:1144 ; 8-byte Folded Spill
	v_mul_f64 v[4:5], v[16:17], v[4:5]
	v_fmac_f64_e32 v[0:1], v[4:5], v[246:247]
	v_mul_f64 v[4:5], v[142:143], v[2:3]
	v_mul_f64 v[4:5], v[14:15], v[4:5]
	v_mul_f64 v[6:7], v[28:29], v[4:5]
	scratch_store_dwordx2 off, v[6:7], off offset:1128 ; 8-byte Folded Spill
	v_mul_f64 v[6:7], v[12:13], v[6:7]
	v_fmac_f64_e32 v[0:1], v[6:7], v[248:249]
	v_mul_f64 v[6:7], v[30:31], v[4:5]
	scratch_store_dwordx2 off, v[6:7], off offset:1160 ; 8-byte Folded Spill
	v_mul_f64 v[6:7], v[14:15], v[6:7]
	v_fmac_f64_e32 v[0:1], v[6:7], v[242:243]
	v_mul_f64 v[6:7], v[40:41], v[4:5]
	scratch_store_dwordx2 off, v[6:7], off offset:1080 ; 8-byte Folded Spill
	v_mul_f64 v[6:7], v[8:9], v[6:7]
	v_fmac_f64_e32 v[0:1], v[6:7], v[244:245]
	v_mul_f64 v[6:7], v[42:43], v[4:5]
	scratch_store_dwordx2 off, v[6:7], off offset:1112 ; 8-byte Folded Spill
	v_mul_f64 v[6:7], v[10:11], v[6:7]
	v_mul_f64 v[4:5], v[208:209], v[4:5]
	v_fmac_f64_e32 v[0:1], v[6:7], v[234:235]
	scratch_store_dwordx2 off, v[4:5], off offset:1480 ; 8-byte Folded Spill
	v_mul_f64 v[4:5], v[16:17], v[4:5]
	v_fmac_f64_e32 v[0:1], v[4:5], v[236:237]
	v_mul_f64 v[4:5], v[134:135], v[2:3]
	v_mul_f64 v[4:5], v[8:9], v[4:5]
	v_mul_f64 v[6:7], v[28:29], v[4:5]
	scratch_store_dwordx2 off, v[6:7], off offset:1496 ; 8-byte Folded Spill
	v_mul_f64 v[6:7], v[12:13], v[6:7]
	v_fmac_f64_e32 v[0:1], v[6:7], v[226:227]
	v_mul_f64 v[6:7], v[30:31], v[4:5]
	scratch_store_dwordx2 off, v[6:7], off offset:1512 ; 8-byte Folded Spill
	;; [unrolled: 22-line block ×3, first 2 shown]
	v_mul_f64 v[6:7], v[14:15], v[6:7]
	v_fmac_f64_e32 v[0:1], v[6:7], v[200:201]
	v_mul_f64 v[6:7], v[40:41], v[4:5]
	scratch_store_dwordx2 off, v[6:7], off offset:1576 ; 8-byte Folded Spill
	v_mul_f64 v[6:7], v[8:9], v[6:7]
	v_fmac_f64_e32 v[0:1], v[6:7], v[202:203]
	v_mul_f64 v[6:7], v[42:43], v[4:5]
	scratch_store_dwordx2 off, v[6:7], off offset:1272 ; 8-byte Folded Spill
	v_mul_f64 v[6:7], v[10:11], v[6:7]
	v_mul_f64 v[4:5], v[208:209], v[4:5]
	;; [unrolled: 1-line block ×3, first 2 shown]
	v_fmac_f64_e32 v[0:1], v[6:7], v[196:197]
	scratch_store_dwordx2 off, v[4:5], off offset:1592 ; 8-byte Folded Spill
	v_mul_f64 v[4:5], v[16:17], v[4:5]
	v_mul_f64 v[2:3], v[16:17], v[2:3]
	v_fmac_f64_e32 v[0:1], v[4:5], v[198:199]
	v_mul_f64 v[4:5], v[28:29], v[2:3]
	scratch_store_dwordx2 off, v[4:5], off offset:1608 ; 8-byte Folded Spill
	v_mul_f64 v[4:5], v[12:13], v[4:5]
	v_fmac_f64_e32 v[0:1], v[4:5], v[192:193]
	v_mul_f64 v[4:5], v[30:31], v[2:3]
	scratch_store_dwordx2 off, v[4:5], off offset:1352 ; 8-byte Folded Spill
	;; [unrolled: 4-line block ×3, first 2 shown]
	v_mul_f64 v[4:5], v[8:9], v[4:5]
	v_fmac_f64_e32 v[0:1], v[4:5], v[188:189]
	v_mul_f64 v[4:5], v[42:43], v[2:3]
	v_mul_f64 v[250:251], v[10:11], v[4:5]
	;; [unrolled: 1-line block ×3, first 2 shown]
	v_accvgpr_write_b32 a125, v19
	v_fmac_f64_e32 v[0:1], v[250:251], v[190:191]
	v_mul_f64 v[250:251], v[16:17], v[2:3]
	v_accvgpr_write_b32 a124, v18
	v_fmac_f64_e32 v[0:1], v[250:251], v[58:59]
	scratch_store_dwordx2 off, a[108:109], off offset:1720 ; 8-byte Folded Spill
	scratch_store_dwordx2 off, a[124:125], off offset:1736 ; 8-byte Folded Spill
	;; [unrolled: 1-line block ×4, first 2 shown]
	global_store_dwordx2 v[66:67], v[0:1], off
	scratch_load_dwordx4 v[64:67], off, off offset:3064 ; 16-byte Folded Reload
	s_nop 0
	scratch_load_dwordx2 v[0:1], off, off offset:112 ; 8-byte Folded Reload
	scratch_load_dwordx4 v[68:71], off, off offset:3096 ; 16-byte Folded Reload
	scratch_load_dwordx2 v[2:3], off, off offset:128 ; 8-byte Folded Reload
	scratch_load_dwordx4 v[72:75], off, off offset:3128 ; 16-byte Folded Reload
	scratch_load_dwordx2 a[130:131], off, off offset:1608 ; 8-byte Folded Reload
	v_accvgpr_read_b32 v10, a78
	v_accvgpr_read_b32 v12, a80
	;; [unrolled: 1-line block ×14, first 2 shown]
	v_accvgpr_write_b32 a20, v84
	v_accvgpr_write_b32 a21, v85
	v_accvgpr_read_b32 v21, a17
	v_accvgpr_read_b32 v20, a16
	;; [unrolled: 1-line block ×3, first 2 shown]
	v_accvgpr_write_b32 a84, v100
	v_accvgpr_write_b32 a85, v101
	;; [unrolled: 1-line block ×4, first 2 shown]
	v_accvgpr_read_b32 v11, a79
	v_accvgpr_write_b32 a78, v96
	v_accvgpr_write_b32 a79, v97
	v_accvgpr_write_b32 a80, v98
	v_accvgpr_write_b32 a81, v99
	scratch_load_dwordx2 a[62:63], off, off offset:1000 ; 8-byte Folded Reload
	scratch_load_dwordx2 a[254:255], off, off offset:1192 ; 8-byte Folded Reload
	;; [unrolled: 1-line block ×3, first 2 shown]
	v_accvgpr_read_b32 v143, a9
	scratch_load_dwordx2 a[60:61], off, off offset:968 ; 8-byte Folded Reload
	v_accvgpr_read_b32 v141, a7
	v_accvgpr_read_b32 v140, a6
	;; [unrolled: 1-line block ×3, first 2 shown]
	scratch_load_dwordx2 a[174:175], off, off offset:1544 ; 8-byte Folded Reload
	scratch_load_dwordx2 a[128:129], off, off offset:1576 ; 8-byte Folded Reload
	;; [unrolled: 1-line block ×4, first 2 shown]
	v_accvgpr_read_b32 v19, a15
	v_accvgpr_read_b32 v18, a14
	s_waitcnt vmcnt(12)
	v_mul_f64 v[0:1], v[66:67], v[0:1]
	v_fma_f64 v[0:1], v[56:57], v[0:1], 0
	s_waitcnt vmcnt(10)
	v_mul_f64 v[250:251], v[70:71], v[2:3]
	v_fmac_f64_e32 v[0:1], v[12:13], v[250:251]
	s_waitcnt vmcnt(9)
	v_mul_f64 v[250:251], v[74:75], v[76:77]
	scratch_load_dwordx4 v[76:79], off, off offset:3160 ; 16-byte Folded Reload
	v_accvgpr_read_b32 v56, a66
	v_accvgpr_read_b32 v58, a68
	;; [unrolled: 1-line block ×3, first 2 shown]
	v_fmac_f64_e32 v[0:1], v[58:59], v[250:251]
	v_accvgpr_read_b32 v3, a1
	v_accvgpr_read_b32 v2, a0
	;; [unrolled: 1-line block ×3, first 2 shown]
	scratch_load_dwordx2 a[68:69], off, off offset:1032 ; 8-byte Folded Reload
	scratch_load_dwordx2 a[66:67], off, off offset:984 ; 8-byte Folded Reload
	s_waitcnt vmcnt(2)
	v_mul_f64 v[250:251], v[78:79], v[80:81]
	scratch_load_dwordx4 v[80:83], off, off offset:3048 ; 16-byte Folded Reload
	v_fmac_f64_e32 v[0:1], v[16:17], v[250:251]
	s_waitcnt vmcnt(0)
	v_mul_f64 v[250:251], v[82:83], v[2:3]
	v_accvgpr_read_b32 v2, a92
	v_accvgpr_read_b32 v4, a94
	;; [unrolled: 1-line block ×3, first 2 shown]
	v_fmac_f64_e32 v[0:1], v[250:251], v[4:5]
	v_mul_f64 v[250:251], v[66:67], v[86:87]
	v_fmac_f64_e32 v[0:1], v[250:251], v[34:35]
	v_mul_f64 v[250:251], v[70:71], v[8:9]
	v_fmac_f64_e32 v[0:1], v[250:251], v[24:25]
	v_mul_f64 v[250:251], v[74:75], v[6:7]
	scratch_load_dwordx2 v[6:7], off, off offset:96 ; 8-byte Folded Reload
	v_accvgpr_read_b32 v35, a27
	v_accvgpr_read_b32 v34, a26
	v_fmac_f64_e32 v[0:1], v[250:251], v[34:35]
	v_mul_f64 v[250:251], v[78:79], v[84:85]
	v_accvgpr_read_b32 v87, a31
	v_accvgpr_read_b32 v86, a30
	v_fmac_f64_e32 v[0:1], v[250:251], v[86:87]
	v_accvgpr_read_b32 v85, a29
	v_accvgpr_read_b32 v84, a28
	v_accvgpr_write_b32 a28, v44
	v_accvgpr_write_b32 a29, v45
	;; [unrolled: 1-line block ×4, first 2 shown]
	v_accvgpr_read_b32 v3, a93
	v_accvgpr_write_b32 a92, v112
	v_accvgpr_write_b32 a93, v113
	;; [unrolled: 1-line block ×4, first 2 shown]
	v_accvgpr_read_b32 v33, a25
	v_accvgpr_read_b32 v32, a24
	v_accvgpr_write_b32 a24, v124
	v_accvgpr_write_b32 a25, v125
	;; [unrolled: 1-line block ×4, first 2 shown]
	s_waitcnt vmcnt(0)
	v_mul_f64 v[250:251], v[82:83], v[6:7]
	scratch_load_dwordx2 v[6:7], off, off offset:320 ; 8-byte Folded Reload
	v_fmac_f64_e32 v[0:1], v[250:251], v[20:21]
	s_waitcnt vmcnt(0)
	v_mul_f64 v[250:251], v[66:67], v[6:7]
	scratch_load_dwordx2 v[6:7], off, off offset:352 ; 8-byte Folded Reload
	v_fmac_f64_e32 v[0:1], v[250:251], v[90:91]
	v_accvgpr_read_b32 v91, a35
	v_accvgpr_read_b32 v90, a34
	;; [unrolled: 1-line block ×4, first 2 shown]
	v_accvgpr_write_b32 a32, v120
	v_accvgpr_write_b32 a33, v121
	;; [unrolled: 1-line block ×4, first 2 shown]
	s_waitcnt vmcnt(0)
	v_mul_f64 v[250:251], v[70:71], v[6:7]
	v_accvgpr_read_b32 v6, a106
	v_accvgpr_read_b32 v7, a107
	v_fmac_f64_e32 v[0:1], v[250:251], v[118:119]
	v_mul_f64 v[250:251], v[74:75], v[6:7]
	v_accvgpr_read_b32 v6, a104
	v_accvgpr_read_b32 v7, a105
	v_fmac_f64_e32 v[0:1], v[250:251], v[130:131]
	v_mul_f64 v[250:251], v[78:79], v[6:7]
	scratch_load_dwordx2 v[6:7], off, off offset:336 ; 8-byte Folded Reload
	v_fmac_f64_e32 v[0:1], v[250:251], v[90:91]
	v_accvgpr_read_b32 v119, a103
	v_accvgpr_read_b32 v117, a101
	;; [unrolled: 1-line block ×8, first 2 shown]
	v_accvgpr_write_b32 a159, v139
	v_accvgpr_write_b32 a158, v138
	scratch_load_dwordx2 a[156:157], off, off offset:1112 ; 8-byte Folded Reload
	scratch_load_dwordx2 a[100:101], off, off offset:1496 ; 8-byte Folded Reload
	v_accvgpr_mov_b32 a102, a118
	v_accvgpr_mov_b32 a103, a119
	s_waitcnt vmcnt(2)
	v_mul_f64 v[250:251], v[82:83], v[6:7]
	scratch_load_dwordx2 v[6:7], off, off offset:368 ; 8-byte Folded Reload
	v_fmac_f64_e32 v[0:1], v[250:251], v[126:127]
	v_accvgpr_read_b32 v127, a91
	v_accvgpr_read_b32 v125, a89
	;; [unrolled: 1-line block ×4, first 2 shown]
	scratch_load_dwordx2 a[88:89], off, off offset:1224 ; 8-byte Folded Reload
	scratch_load_dwordx2 a[90:91], off, off offset:1176 ; 8-byte Folded Reload
	s_waitcnt vmcnt(2)
	v_mul_f64 v[250:251], v[66:67], v[6:7]
	scratch_load_dwordx2 v[6:7], off, off offset:384 ; 8-byte Folded Reload
	v_fmac_f64_e32 v[0:1], v[250:251], v[94:95]
	v_accvgpr_read_b32 v92, a114
	v_accvgpr_read_b32 v94, a116
	;; [unrolled: 1-line block ×4, first 2 shown]
	v_accvgpr_write_b32 a117, v107
	v_accvgpr_write_b32 a116, v106
	;; [unrolled: 1-line block ×4, first 2 shown]
	s_waitcnt vmcnt(0)
	v_mul_f64 v[250:251], v[70:71], v[6:7]
	scratch_load_dwordx2 v[6:7], off, off offset:416 ; 8-byte Folded Reload
	v_fmac_f64_e32 v[0:1], v[250:251], v[114:115]
	v_accvgpr_read_b32 v115, a73
	v_accvgpr_read_b32 v114, a72
	;; [unrolled: 1-line block ×4, first 2 shown]
	scratch_load_dwordx2 a[70:71], off, off offset:1016 ; 8-byte Folded Reload
	scratch_load_dwordx2 a[72:73], off, off offset:1064 ; 8-byte Folded Reload
	s_waitcnt vmcnt(2)
	v_mul_f64 v[250:251], v[74:75], v[6:7]
	scratch_load_dwordx2 v[6:7], off, off offset:400 ; 8-byte Folded Reload
	v_fmac_f64_e32 v[0:1], v[250:251], v[94:95]
	s_waitcnt vmcnt(0)
	v_mul_f64 v[250:251], v[78:79], v[6:7]
	scratch_load_dwordx2 v[6:7], off, off offset:432 ; 8-byte Folded Reload
	v_fmac_f64_e32 v[0:1], v[250:251], v[46:47]
	v_mov_b64_e32 v[44:45], v[230:231]
	v_mov_b64_e32 v[46:47], v[232:233]
	v_accvgpr_read_b32 v233, a221
	v_accvgpr_read_b32 v232, a220
	;; [unrolled: 1-line block ×4, first 2 shown]
	scratch_load_dwordx2 a[218:219], off, off offset:1448 ; 8-byte Folded Reload
	v_accvgpr_mov_b32 a220, a232
	v_accvgpr_mov_b32 a221, a233
	s_waitcnt vmcnt(1)
	v_mul_f64 v[250:251], v[82:83], v[6:7]
	scratch_load_dwordx4 v[6:9], off, off offset:32 ; 16-byte Folded Reload
	scratch_load_dwordx2 v[6:7], off, off offset:256 ; 8-byte Folded Reload
	s_waitcnt vmcnt(1)
	v_fmac_f64_e32 v[0:1], v[250:251], v[8:9]
	s_waitcnt vmcnt(0)
	v_mul_f64 v[250:251], v[66:67], v[6:7]
	scratch_load_dwordx2 v[6:7], off, off offset:192 ; 8-byte Folded Reload
	v_fmac_f64_e32 v[0:1], v[250:251], v[102:103]
	v_accvgpr_read_b32 v103, a51
	v_accvgpr_read_b32 v102, a50
	;; [unrolled: 1-line block ×4, first 2 shown]
	v_accvgpr_mov_b32 a51, a27
	v_accvgpr_mov_b32 a50, a26
	;; [unrolled: 1-line block ×4, first 2 shown]
	s_waitcnt vmcnt(0)
	v_mul_f64 v[250:251], v[70:71], v[6:7]
	scratch_load_dwordx2 v[6:7], off, off offset:448 ; 8-byte Folded Reload
	v_fmac_f64_e32 v[0:1], v[250:251], v[98:99]
	v_accvgpr_read_b32 v96, a142
	v_accvgpr_read_b32 v98, a144
	;; [unrolled: 1-line block ×4, first 2 shown]
	v_accvgpr_write_b32 a145, v111
	v_accvgpr_write_b32 a144, v110
	;; [unrolled: 1-line block ×4, first 2 shown]
	s_waitcnt vmcnt(0)
	v_mul_f64 v[250:251], v[74:75], v[6:7]
	scratch_load_dwordx2 v[6:7], off, off offset:464 ; 8-byte Folded Reload
	v_fmac_f64_e32 v[0:1], v[250:251], v[102:103]
	s_waitcnt vmcnt(0)
	v_mul_f64 v[250:251], v[78:79], v[6:7]
	scratch_load_dwordx4 v[6:9], off, off offset:48 ; 16-byte Folded Reload
	scratch_load_dwordx2 v[6:7], off, off offset:480 ; 8-byte Folded Reload
	s_waitcnt vmcnt(1)
	v_fmac_f64_e32 v[0:1], v[250:251], v[8:9]
	s_waitcnt vmcnt(0)
	v_mul_f64 v[250:251], v[82:83], v[6:7]
	scratch_load_dwordx2 v[6:7], off, off offset:512 ; 8-byte Folded Reload
	v_fmac_f64_e32 v[0:1], v[250:251], v[98:99]
	s_waitcnt vmcnt(0)
	v_mul_f64 v[250:251], v[66:67], v[6:7]
	scratch_load_dwordx2 v[6:7], off, off offset:496 ; 8-byte Folded Reload
	v_fmac_f64_e32 v[0:1], v[106:107], v[250:251]
	v_mov_b64_e32 v[104:105], v[146:147]
	v_mov_b64_e32 v[106:107], v[148:149]
	v_accvgpr_read_b32 v148, a250
	v_accvgpr_read_b32 v149, a251
	;; [unrolled: 1-line block ×4, first 2 shown]
	scratch_load_dwordx2 a[250:251], off, off offset:1464 ; 8-byte Folded Reload
	scratch_load_dwordx2 a[252:253], off, off offset:1288 ; 8-byte Folded Reload
	v_accvgpr_read_b32 v147, a99
	v_accvgpr_read_b32 v146, a98
	;; [unrolled: 1-line block ×4, first 2 shown]
	s_waitcnt vmcnt(2)
	v_mul_f64 v[250:251], v[70:71], v[6:7]
	scratch_load_dwordx4 v[6:9], off, off offset:64 ; 16-byte Folded Reload
	scratch_load_dwordx2 v[6:7], off, off offset:528 ; 8-byte Folded Reload
	s_waitcnt vmcnt(1)
	v_fmac_f64_e32 v[0:1], v[8:9], v[250:251]
	s_waitcnt vmcnt(0)
	v_mul_f64 v[250:251], v[74:75], v[6:7]
	scratch_load_dwordx4 v[6:9], off, off offset:80 ; 16-byte Folded Reload
	scratch_load_dwordx2 v[6:7], off, off offset:304 ; 8-byte Folded Reload
	s_waitcnt vmcnt(1)
	v_fmac_f64_e32 v[0:1], v[8:9], v[250:251]
	s_waitcnt vmcnt(0)
	v_mul_f64 v[250:251], v[78:79], v[6:7]
	scratch_load_dwordx2 v[6:7], off, off offset:288 ; 8-byte Folded Reload
	v_fmac_f64_e32 v[0:1], v[106:107], v[250:251]
	s_waitcnt vmcnt(0)
	v_mul_f64 v[250:251], v[82:83], v[6:7]
	v_accvgpr_read_b32 v6, a162
	v_accvgpr_read_b32 v7, a163
	scratch_load_dwordx2 v[6:7], off, off offset:544 ; 8-byte Folded Reload
	v_accvgpr_read_b32 v8, a164
	v_accvgpr_read_b32 v9, a165
	v_fmac_f64_e32 v[0:1], v[250:251], v[8:9]
	s_waitcnt vmcnt(0)
	v_mul_f64 v[250:251], v[66:67], v[6:7]
	scratch_load_dwordx2 v[6:7], off, off offset:560 ; 8-byte Folded Reload
	v_fmac_f64_e32 v[0:1], v[250:251], v[110:111]
	v_accvgpr_read_b32 v111, a59
	v_accvgpr_read_b32 v110, a58
	;; [unrolled: 1-line block ×4, first 2 shown]
	v_accvgpr_mov_b32 a59, a39
	v_accvgpr_mov_b32 a58, a38
	;; [unrolled: 1-line block ×4, first 2 shown]
	s_waitcnt vmcnt(0)
	v_mul_f64 v[250:251], v[70:71], v[6:7]
	v_accvgpr_read_b32 v6, a146
	v_accvgpr_read_b32 v7, a147
	v_fmac_f64_e32 v[0:1], v[250:251], v[122:123]
	v_mul_f64 v[250:251], v[74:75], v[6:7]
	v_accvgpr_read_b32 v6, a160
	v_accvgpr_read_b32 v7, a161
	v_fmac_f64_e32 v[0:1], v[250:251], v[110:111]
	v_mul_f64 v[250:251], v[78:79], v[6:7]
	v_accvgpr_read_b32 v6, a170
	v_accvgpr_read_b32 v7, a171
	;; [unrolled: 1-line block ×4, first 2 shown]
	v_fmac_f64_e32 v[0:1], v[250:251], v[8:9]
	v_mul_f64 v[250:251], v[82:83], v[132:133]
	v_accvgpr_read_b32 v6, a176
	v_fmac_f64_e32 v[0:1], v[250:251], v[36:37]
	v_mul_f64 v[250:251], v[66:67], v[26:27]
	v_accvgpr_read_b32 v7, a177
	;; [unrolled: 3-line block ×3, first 2 shown]
	v_accvgpr_read_b32 v7, a179
	v_fmac_f64_e32 v[0:1], v[250:251], v[48:49]
	v_mul_f64 v[250:251], v[74:75], v[6:7]
	v_accvgpr_read_b32 v6, a180
	v_accvgpr_read_b32 v7, a181
	v_fmac_f64_e32 v[0:1], v[250:251], v[50:51]
	v_mul_f64 v[250:251], v[78:79], v[6:7]
	v_accvgpr_read_b32 v6, a182
	;; [unrolled: 4-line block ×12, first 2 shown]
	v_accvgpr_read_b32 v7, a203
	v_fmac_f64_e32 v[0:1], v[250:251], v[252:253]
	v_mul_f64 v[250:251], v[82:83], v[6:7]
	v_fmac_f64_e32 v[0:1], v[250:251], v[254:255]
	v_accvgpr_read_b32 v255, a217
	v_accvgpr_read_b32 v254, a216
	v_accvgpr_read_b32 v253, a215
	v_accvgpr_read_b32 v252, a214
	scratch_load_dwordx2 a[214:215], off, off offset:1432 ; 8-byte Folded Reload
	scratch_load_dwordx2 a[216:217], off, off offset:1416 ; 8-byte Folded Reload
	v_accvgpr_read_b32 v6, a204
	v_accvgpr_read_b32 v7, a205
	v_mul_f64 v[250:251], v[66:67], v[6:7]
	v_accvgpr_read_b32 v6, a206
	v_accvgpr_read_b32 v7, a207
	v_fmac_f64_e32 v[0:1], v[238:239], v[250:251]
	v_mul_f64 v[250:251], v[70:71], v[6:7]
	v_accvgpr_read_b32 v6, a208
	v_accvgpr_read_b32 v7, a209
	v_fmac_f64_e32 v[0:1], v[240:241], v[250:251]
	;; [unrolled: 4-line block ×4, first 2 shown]
	v_mul_f64 v[250:251], v[82:83], v[6:7]
	v_fmac_f64_e32 v[0:1], v[250:251], v[252:253]
	v_accvgpr_read_b32 v241, a227
	v_accvgpr_read_b32 v240, a226
	;; [unrolled: 1-line block ×4, first 2 shown]
	v_accvgpr_mov_b32 a226, a230
	v_accvgpr_mov_b32 a227, a231
	v_accvgpr_read_b32 v217, a13
	v_accvgpr_read_b32 v215, a11
	;; [unrolled: 1-line block ×8, first 2 shown]
	v_mov_b64_e32 v[206:207], v[170:171]
	v_mov_b64_e32 v[204:205], v[168:169]
	v_accvgpr_read_b32 v44, a96
	v_accvgpr_read_b32 v45, a97
	;; [unrolled: 1-line block ×4, first 2 shown]
	scratch_load_dwordx2 v[26:27], off, off offset:936 ; 8-byte Folded Reload
	scratch_load_dwordx2 v[36:37], off, off offset:952 ; 8-byte Folded Reload
	v_accvgpr_read_b32 v123, a77
	v_accvgpr_read_b32 v122, a76
	;; [unrolled: 1-line block ×4, first 2 shown]
	scratch_load_dwordx2 a[74:75], off, off offset:1304 ; 8-byte Folded Reload
	scratch_load_dwordx2 a[76:77], off, off offset:1208 ; 8-byte Folded Reload
	v_accvgpr_mov_b32 a225, a83
	v_accvgpr_mov_b32 a224, a82
	v_accvgpr_read_b32 v135, a5
	v_accvgpr_read_b32 v133, a3
	;; [unrolled: 1-line block ×6, first 2 shown]
	scratch_load_dwordx2 a[96:97], off, off offset:1144 ; 8-byte Folded Reload
	scratch_load_dwordx2 a[98:99], off, off offset:1480 ; 8-byte Folded Reload
	v_accvgpr_read_b32 v48, a138
	v_accvgpr_read_b32 v50, a140
	;; [unrolled: 1-line block ×4, first 2 shown]
	v_accvgpr_write_b32 a8, v56
	v_accvgpr_write_b32 a9, v57
	;; [unrolled: 1-line block ×12, first 2 shown]
	s_waitcnt vmcnt(7)
	v_accvgpr_read_b32 v6, a214
	v_accvgpr_read_b32 v7, a215
	v_mul_f64 v[250:251], v[66:67], v[6:7]
	s_waitcnt vmcnt(6)
	v_accvgpr_read_b32 v6, a216
	v_accvgpr_read_b32 v7, a217
	v_fmac_f64_e32 v[0:1], v[250:251], v[254:255]
	v_mul_f64 v[250:251], v[70:71], v[6:7]
	v_accvgpr_read_b32 v6, a218
	v_accvgpr_read_b32 v7, a219
	v_fmac_f64_e32 v[0:1], v[250:251], v[230:231]
	v_mul_f64 v[250:251], v[74:75], v[6:7]
	;; [unrolled: 4-line block ×3, first 2 shown]
	v_accvgpr_read_b32 v6, a230
	v_accvgpr_read_b32 v7, a231
	scratch_load_dwordx2 a[230:231], off, off offset:1336 ; 8-byte Folded Reload
	scratch_load_dwordx2 a[232:233], off, off offset:1320 ; 8-byte Folded Reload
	v_fmac_f64_e32 v[0:1], v[250:251], v[238:239]
	v_mul_f64 v[250:251], v[82:83], v[6:7]
	v_accvgpr_read_b32 v6, a228
	v_accvgpr_read_b32 v7, a229
	v_fmac_f64_e32 v[0:1], v[250:251], v[240:241]
	v_mul_f64 v[250:251], v[66:67], v[6:7]
	v_fmac_f64_e32 v[0:1], v[250:251], v[214:215]
	s_waitcnt vmcnt(1)
	v_accvgpr_read_b32 v6, a230
	v_accvgpr_read_b32 v7, a231
	v_mul_f64 v[250:251], v[70:71], v[6:7]
	s_waitcnt vmcnt(0)
	v_accvgpr_read_b32 v6, a232
	v_accvgpr_read_b32 v7, a233
	v_fmac_f64_e32 v[0:1], v[250:251], v[216:217]
	v_mul_f64 v[250:251], v[74:75], v[6:7]
	v_accvgpr_read_b32 v6, a234
	v_accvgpr_read_b32 v7, a235
	v_fmac_f64_e32 v[0:1], v[250:251], v[210:211]
	v_mul_f64 v[250:251], v[78:79], v[6:7]
	;; [unrolled: 4-line block ×6, first 2 shown]
	v_accvgpr_read_b32 v6, a244
	v_mov_b64_e32 v[168:169], v[184:185]
	v_accvgpr_read_b32 v7, a245
	v_fmac_f64_e32 v[0:1], v[250:251], v[186:187]
	v_mov_b64_e32 v[170:171], v[186:187]
	v_mul_f64 v[250:251], v[78:79], v[6:7]
	v_accvgpr_read_b32 v187, a151
	v_accvgpr_read_b32 v6, a246
	;; [unrolled: 1-line block ×5, first 2 shown]
	v_fmac_f64_e32 v[0:1], v[250:251], v[184:185]
	v_mul_f64 v[250:251], v[82:83], v[6:7]
	v_accvgpr_read_b32 v6, a248
	v_accvgpr_read_b32 v186, a150
	;; [unrolled: 1-line block ×3, first 2 shown]
	v_fmac_f64_e32 v[0:1], v[250:251], v[186:187]
	v_mul_f64 v[250:251], v[66:67], v[6:7]
	v_accvgpr_read_b32 v6, a250
	v_accvgpr_read_b32 v7, a251
	v_fmac_f64_e32 v[0:1], v[250:251], v[148:149]
	v_mul_f64 v[250:251], v[70:71], v[6:7]
	v_accvgpr_read_b32 v6, a252
	v_accvgpr_read_b32 v7, a253
	;; [unrolled: 4-line block ×6, first 2 shown]
	v_fmac_f64_e32 v[0:1], v[142:143], v[250:251]
	v_mul_f64 v[250:251], v[70:71], v[6:7]
	scratch_load_dwordx2 v[6:7], off, off offset:920 ; 8-byte Folded Reload
	scratch_load_dwordx2 a[150:151], off, off offset:1048 ; 8-byte Folded Reload
	;; [unrolled: 1-line block ×4, first 2 shown]
	v_fmac_f64_e32 v[0:1], v[120:121], v[250:251]
	v_accvgpr_read_b32 v44, a152
	v_accvgpr_read_b32 v45, a153
	;; [unrolled: 1-line block ×4, first 2 shown]
	s_waitcnt vmcnt(3)
	v_mul_f64 v[250:251], v[74:75], v[6:7]
	v_fmac_f64_e32 v[0:1], v[122:123], v[250:251]
	v_mul_f64 v[250:251], v[78:79], v[26:27]
	v_fmac_f64_e32 v[0:1], v[132:133], v[250:251]
	;; [unrolled: 2-line block ×3, first 2 shown]
	v_mul_f64 v[250:251], v[66:67], v[8:9]
	v_accvgpr_read_b32 v8, a66
	v_accvgpr_read_b32 v9, a67
	v_fmac_f64_e32 v[0:1], v[250:251], v[112:113]
	v_mul_f64 v[250:251], v[70:71], v[8:9]
	v_accvgpr_read_b32 v8, a70
	v_accvgpr_read_b32 v9, a71
	v_fmac_f64_e32 v[0:1], v[250:251], v[114:115]
	;; [unrolled: 4-line block ×4, first 2 shown]
	v_mul_f64 v[250:251], v[82:83], v[8:9]
	s_waitcnt vmcnt(2)
	v_accvgpr_read_b32 v8, a150
	v_accvgpr_read_b32 v9, a151
	v_fmac_f64_e32 v[0:1], v[250:251], v[124:125]
	v_mul_f64 v[250:251], v[66:67], v[8:9]
	v_accvgpr_read_b32 v8, a74
	v_accvgpr_read_b32 v9, a75
	v_fmac_f64_e32 v[0:1], v[250:251], v[126:127]
	v_mul_f64 v[250:251], v[70:71], v[8:9]
	;; [unrolled: 4-line block ×3, first 2 shown]
	s_waitcnt vmcnt(0)
	v_accvgpr_read_b32 v8, a82
	v_accvgpr_read_b32 v9, a83
	v_fmac_f64_e32 v[0:1], v[250:251], v[130:131]
	v_mul_f64 v[250:251], v[78:79], v[8:9]
	v_mov_b64_e32 v[8:9], v[138:139]
	v_fmac_f64_e32 v[0:1], v[250:251], v[44:45]
	v_mul_f64 v[250:251], v[82:83], v[8:9]
	scratch_load_dwordx2 v[8:9], off, off offset:144 ; 8-byte Folded Reload
	v_fmac_f64_e32 v[0:1], v[250:251], v[46:47]
	v_accvgpr_read_b32 v136, a152
	v_accvgpr_read_b32 v137, a153
	;; [unrolled: 1-line block ×4, first 2 shown]
	scratch_load_dwordx2 a[152:153], off, off offset:1160 ; 8-byte Folded Reload
	scratch_load_dwordx2 a[154:155], off, off offset:1080 ; 8-byte Folded Reload
	;; [unrolled: 1-line block ×3, first 2 shown]
	s_waitcnt vmcnt(3)
	v_mul_f64 v[250:251], v[66:67], v[8:9]
	scratch_load_dwordx2 v[8:9], off, off offset:160 ; 8-byte Folded Reload
	v_fmac_f64_e32 v[0:1], v[250:251], v[152:153]
	s_waitcnt vmcnt(0)
	v_mul_f64 v[250:251], v[70:71], v[8:9]
	scratch_load_dwordx2 v[8:9], off, off offset:176 ; 8-byte Folded Reload
	v_fmac_f64_e32 v[0:1], v[250:251], v[154:155]
	;; [unrolled: 4-line block ×6, first 2 shown]
	s_waitcnt vmcnt(0)
	v_mul_f64 v[250:251], v[70:71], v[8:9]
	v_accvgpr_read_b32 v8, a126
	v_accvgpr_read_b32 v9, a127
	v_fmac_f64_e32 v[0:1], v[250:251], v[164:165]
	v_mul_f64 v[250:251], v[74:75], v[8:9]
	v_accvgpr_read_b32 v8, a40
	v_accvgpr_read_b32 v9, a41
	v_fmac_f64_e32 v[0:1], v[250:251], v[166:167]
	;; [unrolled: 4-line block ×3, first 2 shown]
	v_mul_f64 v[250:251], v[82:83], v[8:9]
	v_accvgpr_read_b32 v8, a108
	v_accvgpr_read_b32 v9, a109
	scratch_load_dwordx2 a[108:109], off, off offset:1512 ; 8-byte Folded Reload
	v_fmac_f64_e32 v[0:1], v[250:251], v[174:175]
	v_mul_f64 v[250:251], v[66:67], v[8:9]
	v_accvgpr_read_b32 v8, a124
	v_accvgpr_read_b32 v9, a125
	scratch_load_dwordx2 a[124:125], off, off offset:1560 ; 8-byte Folded Reload
	scratch_load_dwordx2 a[126:127], off, off offset:1256 ; 8-byte Folded Reload
	v_fmac_f64_e32 v[0:1], v[176:177], v[250:251]
	v_mul_f64 v[250:251], v[70:71], v[8:9]
	v_accvgpr_read_b32 v8, a88
	v_accvgpr_read_b32 v9, a89
	v_fmac_f64_e32 v[0:1], v[178:179], v[250:251]
	v_mul_f64 v[250:251], v[74:75], v[8:9]
	v_accvgpr_read_b32 v8, a90
	v_accvgpr_read_b32 v9, a91
	;; [unrolled: 4-line block ×9, first 2 shown]
	v_fmac_f64_e32 v[0:1], v[250:251], v[236:237]
	v_mul_f64 v[250:251], v[66:67], v[8:9]
	v_fmac_f64_e32 v[0:1], v[250:251], v[226:227]
	v_accvgpr_mov_b32 a40, a138
	v_accvgpr_mov_b32 a41, a139
	;; [unrolled: 1-line block ×4, first 2 shown]
	v_accvgpr_write_b32 a141, v21
	v_accvgpr_write_b32 a140, v20
	;; [unrolled: 1-line block ×4, first 2 shown]
	s_waitcnt vmcnt(2)
	v_accvgpr_read_b32 v8, a108
	v_accvgpr_read_b32 v9, a109
	v_mul_f64 v[250:251], v[70:71], v[8:9]
	v_accvgpr_read_b32 v8, a118
	v_accvgpr_read_b32 v9, a119
	v_fmac_f64_e32 v[0:1], v[250:251], v[228:229]
	v_mul_f64 v[250:251], v[74:75], v[8:9]
	v_accvgpr_read_b32 v8, a174
	v_accvgpr_read_b32 v9, a175
	v_fmac_f64_e32 v[0:1], v[250:251], v[222:223]
	;; [unrolled: 4-line block ×3, first 2 shown]
	v_mul_f64 v[250:251], v[82:83], v[8:9]
	s_waitcnt vmcnt(1)
	v_accvgpr_read_b32 v8, a124
	v_accvgpr_read_b32 v9, a125
	v_fmac_f64_e32 v[0:1], v[250:251], v[218:219]
	v_mul_f64 v[250:251], v[66:67], v[8:9]
	s_waitcnt vmcnt(0)
	v_accvgpr_read_b32 v8, a126
	v_accvgpr_read_b32 v9, a127
	v_fmac_f64_e32 v[0:1], v[250:251], v[220:221]
	v_mul_f64 v[250:251], v[70:71], v[8:9]
	v_accvgpr_read_b32 v8, a128
	v_accvgpr_read_b32 v9, a129
	v_fmac_f64_e32 v[0:1], v[250:251], v[200:201]
	v_mul_f64 v[250:251], v[74:75], v[8:9]
	;; [unrolled: 4-line block ×6, first 2 shown]
	scratch_load_dwordx2 v[70:71], off, off offset:1368 ; 8-byte Folded Reload
	v_fmac_f64_e32 v[0:1], v[250:251], v[194:195]
	v_accvgpr_read_b32 v66, a222
	v_accvgpr_read_b32 v67, a223
	v_add_co_u32_e32 v8, vcc, s2, v66
	s_waitcnt vmcnt(0)
	v_mul_f64 v[250:251], v[74:75], v[70:71]
	scratch_load_dwordx2 v[74:75], off, off offset:1384 ; 8-byte Folded Reload
	v_fmac_f64_e32 v[0:1], v[250:251], v[188:189]
	v_addc_co_u32_e32 v9, vcc, 0, v67, vcc
	v_accvgpr_write_b32 a223, v9
	v_accvgpr_write_b32 a222, v8
	s_waitcnt vmcnt(0)
	v_mul_f64 v[250:251], v[78:79], v[74:75]
	scratch_load_dwordx2 v[78:79], off, off offset:1400 ; 8-byte Folded Reload
	v_fmac_f64_e32 v[0:1], v[250:251], v[190:191]
	s_waitcnt vmcnt(0)
	v_mul_f64 v[250:251], v[82:83], v[78:79]
	v_fmac_f64_e32 v[0:1], v[250:251], v[50:51]
	v_add_co_u32_e32 v250, vcc, s7, v66
	s_nop 1
	v_addc_co_u32_e32 v251, vcc, 0, v67, vcc
	global_store_dwordx2 v[250:251], v[0:1], off offset:-4096
	scratch_load_dwordx4 v[44:47], off, off offset:3080 ; 16-byte Folded Reload
	s_nop 0
	scratch_load_dwordx2 v[0:1], off, off offset:112 ; 8-byte Folded Reload
	s_waitcnt vmcnt(0)
	v_mul_f64 v[0:1], v[44:45], v[0:1]
	v_fma_f64 v[0:1], v[48:49], v[0:1], 0
	scratch_load_dwordx4 v[48:51], off, off offset:3112 ; 16-byte Folded Reload
	scratch_load_dwordx2 v[8:9], off, off offset:128 ; 8-byte Folded Reload
	s_waitcnt vmcnt(0)
	v_mul_f64 v[38:39], v[48:49], v[8:9]
	scratch_load_dwordx4 v[52:55], off, off offset:3144 ; 16-byte Folded Reload
	scratch_load_dwordx2 v[8:9], off, off offset:1624 ; 8-byte Folded Reload
	v_fmac_f64_e32 v[0:1], v[12:13], v[38:39]
	s_waitcnt vmcnt(0)
	v_mul_f64 v[38:39], v[52:53], v[8:9]
	v_fmac_f64_e32 v[0:1], v[58:59], v[38:39]
	scratch_load_dwordx4 v[56:59], off, off offset:3176 ; 16-byte Folded Reload
	scratch_load_dwordx2 v[8:9], off, off offset:1640 ; 8-byte Folded Reload
	scratch_load_dwordx4 v[60:63], off, off offset:3192 ; 16-byte Folded Reload
	s_waitcnt vmcnt(1)
	v_mul_f64 v[38:39], v[56:57], v[8:9]
	v_accvgpr_read_b32 v9, a1
	v_accvgpr_read_b32 v8, a0
	v_accvgpr_write_b32 a0, v2
	v_accvgpr_write_b32 a1, v3
	;; [unrolled: 1-line block ×4, first 2 shown]
	v_accvgpr_read_b32 v2, a18
	v_fmac_f64_e32 v[0:1], v[16:17], v[38:39]
	s_waitcnt vmcnt(0)
	v_mul_f64 v[38:39], v[60:61], v[8:9]
	v_accvgpr_read_b32 v3, a19
	v_fmac_f64_e32 v[0:1], v[38:39], v[4:5]
	v_mul_f64 v[38:39], v[44:45], v[2:3]
	scratch_load_dwordx4 v[2:5], off, off   ; 16-byte Folded Reload
	s_waitcnt vmcnt(0)
	v_accvgpr_read_b32 v2, a112
	v_accvgpr_read_b32 v3, a113
	v_accvgpr_write_b32 a16, v22
	v_accvgpr_write_b32 a17, v23
	;; [unrolled: 1-line block ×4, first 2 shown]
	v_fmac_f64_e32 v[0:1], v[38:39], v[4:5]
	v_mul_f64 v[38:39], v[48:49], v[2:3]
	v_accvgpr_read_b32 v2, a110
	v_accvgpr_read_b32 v3, a111
	v_fmac_f64_e32 v[0:1], v[38:39], v[24:25]
	v_mul_f64 v[38:39], v[52:53], v[2:3]
	v_accvgpr_read_b32 v2, a20
	v_accvgpr_read_b32 v3, a21
	v_fmac_f64_e32 v[0:1], v[38:39], v[34:35]
	v_mul_f64 v[38:39], v[56:57], v[2:3]
	scratch_load_dwordx2 v[2:3], off, off offset:96 ; 8-byte Folded Reload
	v_fmac_f64_e32 v[0:1], v[38:39], v[86:87]
	v_accvgpr_write_b32 a20, v84
	v_accvgpr_write_b32 a21, v85
	;; [unrolled: 1-line block ×4, first 2 shown]
	v_accvgpr_read_b32 v85, a55
	v_accvgpr_read_b32 v84, a54
	;; [unrolled: 1-line block ×4, first 2 shown]
	v_accvgpr_write_b32 a52, v92
	v_accvgpr_write_b32 a53, v93
	;; [unrolled: 1-line block ×8, first 2 shown]
	s_waitcnt vmcnt(0)
	v_mul_f64 v[38:39], v[60:61], v[2:3]
	scratch_load_dwordx2 v[2:3], off, off offset:320 ; 8-byte Folded Reload
	v_fmac_f64_e32 v[0:1], v[38:39], v[20:21]
	s_waitcnt vmcnt(0)
	v_mul_f64 v[38:39], v[44:45], v[2:3]
	scratch_load_dwordx4 v[2:5], off, off offset:16 ; 16-byte Folded Reload
	scratch_load_dwordx2 v[2:3], off, off offset:352 ; 8-byte Folded Reload
	s_waitcnt vmcnt(1)
	v_fmac_f64_e32 v[0:1], v[38:39], v[4:5]
	s_waitcnt vmcnt(0)
	v_mul_f64 v[38:39], v[48:49], v[2:3]
	v_accvgpr_read_b32 v2, a120
	v_accvgpr_read_b32 v3, a121
	;; [unrolled: 1-line block ×6, first 2 shown]
	v_fmac_f64_e32 v[0:1], v[38:39], v[4:5]
	v_mul_f64 v[38:39], v[52:53], v[2:3]
	v_accvgpr_read_b32 v2, a36
	v_accvgpr_read_b32 v3, a37
	;; [unrolled: 1-line block ×6, first 2 shown]
	v_fmac_f64_e32 v[0:1], v[38:39], v[4:5]
	v_mul_f64 v[38:39], v[56:57], v[2:3]
	scratch_load_dwordx2 v[2:3], off, off offset:336 ; 8-byte Folded Reload
	v_fmac_f64_e32 v[0:1], v[38:39], v[90:91]
	v_accvgpr_write_b32 a107, v91
	v_accvgpr_write_b32 a106, v90
	;; [unrolled: 1-line block ×4, first 2 shown]
	v_accvgpr_read_b32 v88, a92
	v_accvgpr_read_b32 v90, a94
	;; [unrolled: 1-line block ×4, first 2 shown]
	v_accvgpr_mov_b32 a95, a31
	v_accvgpr_mov_b32 a94, a30
	;; [unrolled: 1-line block ×4, first 2 shown]
	v_accvgpr_write_b32 a36, v104
	v_accvgpr_write_b32 a37, v105
	;; [unrolled: 1-line block ×4, first 2 shown]
	s_waitcnt vmcnt(0)
	v_mul_f64 v[38:39], v[60:61], v[2:3]
	v_accvgpr_read_b32 v2, a24
	v_accvgpr_read_b32 v3, a25
	scratch_load_dwordx2 v[2:3], off, off offset:368 ; 8-byte Folded Reload
	v_accvgpr_read_b32 v4, a26
	v_accvgpr_read_b32 v5, a27
	v_fmac_f64_e32 v[0:1], v[38:39], v[4:5]
	v_accvgpr_write_b32 a24, v96
	v_accvgpr_write_b32 a25, v97
	;; [unrolled: 1-line block ×4, first 2 shown]
	s_waitcnt vmcnt(0)
	v_mul_f64 v[38:39], v[44:45], v[2:3]
	scratch_load_dwordx2 v[2:3], off, off offset:384 ; 8-byte Folded Reload
	v_fmac_f64_e32 v[0:1], v[38:39], v[84:85]
	v_accvgpr_read_b32 v84, a142
	v_accvgpr_read_b32 v86, a144
	;; [unrolled: 1-line block ×4, first 2 shown]
	s_waitcnt vmcnt(0)
	v_mul_f64 v[38:39], v[48:49], v[2:3]
	scratch_load_dwordx2 v[2:3], off, off offset:416 ; 8-byte Folded Reload
	v_fmac_f64_e32 v[0:1], v[38:39], v[90:91]
	v_accvgpr_read_b32 v90, a114
	v_accvgpr_read_b32 v92, a116
	;; [unrolled: 1-line block ×4, first 2 shown]
	s_waitcnt vmcnt(0)
	v_mul_f64 v[38:39], v[52:53], v[2:3]
	scratch_load_dwordx2 v[2:3], off, off offset:400 ; 8-byte Folded Reload
	v_fmac_f64_e32 v[0:1], v[38:39], v[94:95]
	scratch_load_dwordx4 v[94:97], off, off offset:64 ; 16-byte Folded Reload
	s_waitcnt vmcnt(1)
	v_mul_f64 v[38:39], v[56:57], v[2:3]
	v_accvgpr_read_b32 v2, a28
	v_accvgpr_read_b32 v3, a29
	scratch_load_dwordx2 v[2:3], off, off offset:432 ; 8-byte Folded Reload
	v_accvgpr_read_b32 v4, a30
	v_accvgpr_read_b32 v5, a31
	v_fmac_f64_e32 v[0:1], v[38:39], v[4:5]
	v_accvgpr_write_b32 a28, v100
	v_accvgpr_write_b32 a29, v101
	;; [unrolled: 1-line block ×4, first 2 shown]
	s_waitcnt vmcnt(0)
	v_mul_f64 v[38:39], v[60:61], v[2:3]
	scratch_load_dwordx4 v[2:5], off, off offset:32 ; 16-byte Folded Reload
	s_waitcnt vmcnt(0)
	v_accvgpr_write_b32 a47, v5
	v_accvgpr_write_b32 a46, v4
	;; [unrolled: 1-line block ×4, first 2 shown]
	scratch_load_dwordx2 v[2:3], off, off offset:256 ; 8-byte Folded Reload
	v_fmac_f64_e32 v[0:1], v[38:39], v[4:5]
	s_waitcnt vmcnt(0)
	v_mul_f64 v[38:39], v[44:45], v[2:3]
	v_accvgpr_read_b32 v2, a84
	v_accvgpr_read_b32 v3, a85
	scratch_load_dwordx2 v[2:3], off, off offset:192 ; 8-byte Folded Reload
	v_accvgpr_read_b32 v4, a86
	v_accvgpr_read_b32 v5, a87
	v_fmac_f64_e32 v[0:1], v[38:39], v[4:5]
	s_waitcnt vmcnt(0)
	v_mul_f64 v[38:39], v[48:49], v[2:3]
	v_accvgpr_read_b32 v2, a78
	v_accvgpr_read_b32 v3, a79
	scratch_load_dwordx2 v[2:3], off, off offset:448 ; 8-byte Folded Reload
	v_accvgpr_read_b32 v4, a80
	v_accvgpr_read_b32 v5, a81
	v_fmac_f64_e32 v[0:1], v[38:39], v[4:5]
	s_waitcnt vmcnt(0)
	v_mul_f64 v[38:39], v[52:53], v[2:3]
	scratch_load_dwordx2 v[2:3], off, off offset:464 ; 8-byte Folded Reload
	v_fmac_f64_e32 v[0:1], v[38:39], v[102:103]
	scratch_load_dwordx4 v[100:103], off, off offset:48 ; 16-byte Folded Reload
	s_waitcnt vmcnt(1)
	v_mul_f64 v[38:39], v[56:57], v[2:3]
	scratch_load_dwordx2 v[2:3], off, off offset:480 ; 8-byte Folded Reload
	s_waitcnt vmcnt(1)
	v_fmac_f64_e32 v[0:1], v[38:39], v[102:103]
	v_accvgpr_read_b32 v102, a162
	v_accvgpr_read_b32 v104, a164
	;; [unrolled: 1-line block ×4, first 2 shown]
	s_waitcnt vmcnt(0)
	v_mul_f64 v[38:39], v[60:61], v[2:3]
	scratch_load_dwordx2 v[2:3], off, off offset:512 ; 8-byte Folded Reload
	v_fmac_f64_e32 v[0:1], v[38:39], v[98:99]
	s_waitcnt vmcnt(0)
	v_mul_f64 v[38:39], v[44:45], v[2:3]
	scratch_load_dwordx2 v[2:3], off, off offset:496 ; 8-byte Folded Reload
	v_fmac_f64_e32 v[0:1], v[92:93], v[38:39]
	;; [unrolled: 4-line block ×3, first 2 shown]
	scratch_load_dwordx4 v[96:99], off, off offset:80 ; 16-byte Folded Reload
	s_waitcnt vmcnt(1)
	v_mul_f64 v[38:39], v[52:53], v[2:3]
	scratch_load_dwordx2 v[2:3], off, off offset:304 ; 8-byte Folded Reload
	s_waitcnt vmcnt(1)
	v_fmac_f64_e32 v[0:1], v[98:99], v[38:39]
	s_waitcnt vmcnt(0)
	v_mul_f64 v[38:39], v[56:57], v[2:3]
	scratch_load_dwordx2 v[2:3], off, off offset:288 ; 8-byte Folded Reload
	v_fmac_f64_e32 v[0:1], v[106:107], v[38:39]
	s_waitcnt vmcnt(0)
	v_mul_f64 v[38:39], v[60:61], v[2:3]
	scratch_load_dwordx2 v[2:3], off, off offset:544 ; 8-byte Folded Reload
	v_fmac_f64_e32 v[0:1], v[38:39], v[104:105]
	v_accvgpr_read_b32 v107, a35
	v_accvgpr_read_b32 v106, a34
	v_accvgpr_read_b32 v105, a33
	v_accvgpr_read_b32 v104, a32
	v_accvgpr_write_b32 a32, v108
	v_accvgpr_write_b32 a33, v109
	;; [unrolled: 1-line block ×4, first 2 shown]
	s_waitcnt vmcnt(0)
	v_mul_f64 v[38:39], v[44:45], v[2:3]
	scratch_load_dwordx2 v[2:3], off, off offset:560 ; 8-byte Folded Reload
	v_fmac_f64_e32 v[0:1], v[38:39], v[86:87]
	s_waitcnt vmcnt(0)
	v_mul_f64 v[38:39], v[48:49], v[2:3]
	v_accvgpr_read_b32 v2, a146
	v_accvgpr_read_b32 v3, a147
	v_fmac_f64_e32 v[0:1], v[38:39], v[106:107]
	v_mul_f64 v[38:39], v[52:53], v[2:3]
	v_accvgpr_read_b32 v2, a160
	v_accvgpr_read_b32 v3, a161
	v_fmac_f64_e32 v[0:1], v[38:39], v[110:111]
	v_mul_f64 v[38:39], v[56:57], v[2:3]
	scratch_load_dwordx2 v[2:3], off, off offset:1656 ; 8-byte Folded Reload
	v_accvgpr_read_b32 v106, a170
	v_accvgpr_read_b32 v108, a172
	;; [unrolled: 1-line block ×3, first 2 shown]
	v_fmac_f64_e32 v[0:1], v[38:39], v[108:109]
	v_accvgpr_read_b32 v107, a171
	s_waitcnt vmcnt(0)
	v_mul_f64 v[38:39], v[60:61], v[2:3]
	scratch_load_dwordx4 v[2:5], off, off offset:616 ; 16-byte Folded Reload
	s_waitcnt vmcnt(0)
	v_fmac_f64_e32 v[0:1], v[38:39], v[2:3]
	scratch_load_dwordx2 v[2:3], off, off offset:1672 ; 8-byte Folded Reload
	s_waitcnt vmcnt(0)
	v_mul_f64 v[38:39], v[44:45], v[2:3]
	v_accvgpr_read_b32 v2, a176
	v_accvgpr_read_b32 v3, a177
	v_fmac_f64_e32 v[0:1], v[38:39], v[4:5]
	v_mul_f64 v[38:39], v[48:49], v[2:3]
	scratch_load_dwordx4 v[2:5], off, off offset:632 ; 16-byte Folded Reload
	s_waitcnt vmcnt(0)
	v_fmac_f64_e32 v[0:1], v[38:39], v[2:3]
	v_accvgpr_read_b32 v2, a178
	v_accvgpr_read_b32 v3, a179
	v_mul_f64 v[38:39], v[52:53], v[2:3]
	v_accvgpr_read_b32 v2, a180
	v_accvgpr_read_b32 v3, a181
	v_fmac_f64_e32 v[0:1], v[38:39], v[4:5]
	v_mul_f64 v[38:39], v[56:57], v[2:3]
	scratch_load_dwordx4 v[2:5], off, off offset:648 ; 16-byte Folded Reload
	s_waitcnt vmcnt(0)
	v_fmac_f64_e32 v[0:1], v[38:39], v[2:3]
	v_accvgpr_read_b32 v2, a182
	v_accvgpr_read_b32 v3, a183
	;; [unrolled: 10-line block ×8, first 2 shown]
	v_mul_f64 v[38:39], v[48:49], v[2:3]
	v_accvgpr_read_b32 v2, a208
	v_accvgpr_read_b32 v3, a209
	v_fmac_f64_e32 v[0:1], v[4:5], v[38:39]
	v_mul_f64 v[38:39], v[52:53], v[2:3]
	v_accvgpr_read_b32 v2, a166
	v_accvgpr_read_b32 v3, a167
	v_fmac_f64_e32 v[0:1], v[2:3], v[38:39]
	v_accvgpr_read_b32 v2, a210
	v_accvgpr_read_b32 v3, a211
	v_mul_f64 v[38:39], v[56:57], v[2:3]
	v_accvgpr_read_b32 v2, a212
	v_accvgpr_read_b32 v4, a168
	;; [unrolled: 1-line block ×4, first 2 shown]
	v_fmac_f64_e32 v[0:1], v[4:5], v[38:39]
	v_mul_f64 v[38:39], v[60:61], v[2:3]
	v_accvgpr_read_b32 v2, a214
	v_accvgpr_read_b32 v3, a215
	v_fmac_f64_e32 v[0:1], v[38:39], v[252:253]
	v_mul_f64 v[38:39], v[44:45], v[2:3]
	v_accvgpr_read_b32 v2, a216
	v_accvgpr_read_b32 v3, a217
	;; [unrolled: 4-line block ×22, first 2 shown]
	v_fmac_f64_e32 v[0:1], v[142:143], v[38:39]
	v_mul_f64 v[38:39], v[48:49], v[2:3]
	v_fmac_f64_e32 v[0:1], v[120:121], v[38:39]
	v_mul_f64 v[38:39], v[52:53], v[6:7]
	;; [unrolled: 2-line block ×3, first 2 shown]
	v_accvgpr_read_b32 v2, a60
	v_fmac_f64_e32 v[0:1], v[132:133], v[38:39]
	v_mul_f64 v[38:39], v[60:61], v[36:37]
	v_accvgpr_read_b32 v3, a61
	v_fmac_f64_e32 v[0:1], v[38:39], v[134:135]
	v_mul_f64 v[38:39], v[44:45], v[2:3]
	v_accvgpr_read_b32 v2, a66
	v_accvgpr_read_b32 v3, a67
	v_fmac_f64_e32 v[0:1], v[38:39], v[112:113]
	v_mul_f64 v[38:39], v[48:49], v[2:3]
	v_accvgpr_read_b32 v2, a70
	;; [unrolled: 4-line block ×9, first 2 shown]
	v_accvgpr_read_b32 v3, a159
	v_fmac_f64_e32 v[0:1], v[38:39], v[136:137]
	v_mul_f64 v[38:39], v[60:61], v[2:3]
	scratch_load_dwordx2 v[2:3], off, off offset:144 ; 8-byte Folded Reload
	v_fmac_f64_e32 v[0:1], v[38:39], v[138:139]
	v_mul_f64 v[6:7], v[52:53], v[70:71]
	v_mul_f64 v[4:5], v[56:57], v[74:75]
	scratch_load_dwordx2 v[126:127], off, off offset:3208 ; 8-byte Folded Reload
	s_waitcnt vmcnt(1)
	v_mul_f64 v[38:39], v[44:45], v[2:3]
	scratch_load_dwordx2 v[2:3], off, off offset:160 ; 8-byte Folded Reload
	v_fmac_f64_e32 v[0:1], v[38:39], v[152:153]
	s_waitcnt vmcnt(0)
	v_mul_f64 v[38:39], v[48:49], v[2:3]
	scratch_load_dwordx2 v[2:3], off, off offset:176 ; 8-byte Folded Reload
	v_fmac_f64_e32 v[0:1], v[38:39], v[154:155]
	;; [unrolled: 4-line block ×11, first 2 shown]
	s_waitcnt vmcnt(0)
	v_mul_f64 v[38:39], v[48:49], v[2:3]
	v_accvgpr_read_b32 v2, a88
	v_accvgpr_read_b32 v3, a89
	v_fmac_f64_e32 v[0:1], v[178:179], v[38:39]
	v_mul_f64 v[38:39], v[52:53], v[2:3]
	v_accvgpr_read_b32 v2, a90
	v_accvgpr_read_b32 v3, a91
	v_fmac_f64_e32 v[0:1], v[180:181], v[38:39]
	;; [unrolled: 4-line block ×5, first 2 shown]
	v_mul_f64 v[38:39], v[48:49], v[2:3]
	v_accvgpr_read_b32 v2, a154
	v_accvgpr_read_b32 v3, a155
	v_mul_f64 v[36:37], v[52:53], v[2:3]
	v_accvgpr_read_b32 v2, a156
	v_accvgpr_read_b32 v3, a157
	;; [unrolled: 3-line block ×3, first 2 shown]
	v_mul_f64 v[32:33], v[60:61], v[2:3]
	v_accvgpr_read_b32 v2, a100
	v_fmac_f64_e32 v[0:1], v[38:39], v[242:243]
	v_accvgpr_read_b32 v3, a101
	v_fmac_f64_e32 v[0:1], v[36:37], v[244:245]
	v_mul_f64 v[26:27], v[44:45], v[2:3]
	v_accvgpr_read_b32 v2, a108
	v_fmac_f64_e32 v[0:1], v[34:35], v[234:235]
	v_accvgpr_read_b32 v3, a109
	v_fmac_f64_e32 v[0:1], v[32:33], v[236:237]
	;; [unrolled: 5-line block ×3, first 2 shown]
	v_mul_f64 v[24:25], v[52:53], v[2:3]
	v_accvgpr_read_b32 v2, a174
	v_accvgpr_read_b32 v3, a175
	v_fmac_f64_e32 v[0:1], v[24:25], v[222:223]
	v_mul_f64 v[24:25], v[56:57], v[2:3]
	v_accvgpr_read_b32 v2, a254
	v_accvgpr_read_b32 v3, a255
	v_mul_f64 v[22:23], v[60:61], v[2:3]
	v_accvgpr_read_b32 v2, a124
	v_accvgpr_read_b32 v3, a125
	;; [unrolled: 3-line block ×4, first 2 shown]
	v_mul_f64 v[16:17], v[52:53], v[2:3]
	v_accvgpr_read_b32 v2, a134
	v_fmac_f64_e32 v[0:1], v[24:25], v[224:225]
	v_accvgpr_read_b32 v3, a135
	v_fmac_f64_e32 v[0:1], v[22:23], v[218:219]
	v_mul_f64 v[14:15], v[56:57], v[2:3]
	v_accvgpr_read_b32 v2, a132
	v_fmac_f64_e32 v[0:1], v[20:21], v[220:221]
	v_accvgpr_read_b32 v3, a133
	v_fmac_f64_e32 v[0:1], v[18:19], v[200:201]
	;; [unrolled: 5-line block ×4, first 2 shown]
	v_mul_f64 v[8:9], v[48:49], v[2:3]
	v_fmac_f64_e32 v[0:1], v[8:9], v[194:195]
	v_mul_f64 v[2:3], v[60:61], v[78:79]
	v_mov_b64_e32 v[60:61], v[66:67]
	v_fmac_f64_e32 v[0:1], v[6:7], v[188:189]
	v_add_co_u32_e32 v192, vcc, s3, v60
	v_fmac_f64_e32 v[0:1], v[4:5], v[190:191]
	v_accvgpr_read_b32 v4, a40
	v_addc_co_u32_e32 v193, vcc, 0, v61, vcc
	v_accvgpr_read_b32 v6, a42
	v_accvgpr_read_b32 v7, a43
	v_add_co_u32_e32 v146, vcc, s8, v60
	v_fmac_f64_e32 v[0:1], v[2:3], v[6:7]
	s_nop 0
	v_addc_co_u32_e32 v147, vcc, 0, v61, vcc
	global_store_dwordx2 v[146:147], v[0:1], off offset:-4096
	scratch_load_dwordx2 v[0:1], off, off offset:776 ; 8-byte Folded Reload
	v_accvgpr_read_b32 v5, a41
	v_accvgpr_read_b32 v4, a12
	;; [unrolled: 1-line block ×9, first 2 shown]
	v_mov_b64_e32 v[254:255], v[146:147]
	s_waitcnt vmcnt(0)
	v_mul_f64 v[2:3], v[64:65], v[0:1]
	v_mul_f64 v[0:1], v[28:29], v[2:3]
	v_mul_f64 v[0:1], v[46:47], v[0:1]
	v_fma_f64 v[0:1], v[4:5], v[0:1], 0
	v_mul_f64 v[4:5], v[30:31], v[2:3]
	v_mul_f64 v[4:5], v[50:51], v[4:5]
	v_fmac_f64_e32 v[0:1], v[6:7], v[4:5]
	v_mul_f64 v[4:5], v[40:41], v[2:3]
	v_accvgpr_read_b32 v9, a7
	v_mul_f64 v[4:5], v[54:55], v[4:5]
	v_accvgpr_read_b32 v8, a6
	v_accvgpr_read_b32 v7, a5
	v_accvgpr_read_b32 v6, a4
	v_fmac_f64_e32 v[0:1], v[6:7], v[4:5]
	v_mul_f64 v[4:5], v[42:43], v[2:3]
	v_accvgpr_read_b32 v9, a3
	v_mul_f64 v[4:5], v[58:59], v[4:5]
	v_accvgpr_read_b32 v7, a1
	v_accvgpr_read_b32 v6, a0
	v_fmac_f64_e32 v[0:1], v[6:7], v[4:5]
	scratch_load_dwordx4 v[4:7], off, off   ; 16-byte Folded Reload
	v_mul_f64 v[2:3], v[208:209], v[2:3]
	v_mul_f64 v[2:3], v[62:63], v[2:3]
	v_accvgpr_read_b32 v8, a2
	s_waitcnt vmcnt(0)
	v_accvgpr_read_b32 v6, a16
	v_accvgpr_read_b32 v7, a17
	;; [unrolled: 1-line block ×4, first 2 shown]
	v_fmac_f64_e32 v[0:1], v[2:3], v[4:5]
	scratch_load_dwordx2 v[2:3], off, off offset:792 ; 8-byte Folded Reload
	s_waitcnt vmcnt(0)
	v_mul_f64 v[2:3], v[68:69], v[2:3]
	v_mul_f64 v[4:5], v[28:29], v[2:3]
	;; [unrolled: 1-line block ×3, first 2 shown]
	v_fmac_f64_e32 v[0:1], v[4:5], v[6:7]
	v_mul_f64 v[4:5], v[30:31], v[2:3]
	v_accvgpr_read_b32 v6, a110
	v_mul_f64 v[4:5], v[50:51], v[4:5]
	v_accvgpr_read_b32 v7, a111
	v_accvgpr_read_b32 v8, a112
	;; [unrolled: 1-line block ×3, first 2 shown]
	v_fmac_f64_e32 v[0:1], v[4:5], v[6:7]
	v_mul_f64 v[4:5], v[40:41], v[2:3]
	v_accvgpr_read_b32 v6, a20
	v_mul_f64 v[4:5], v[54:55], v[4:5]
	v_accvgpr_read_b32 v7, a21
	v_accvgpr_read_b32 v8, a22
	;; [unrolled: 1-line block ×3, first 2 shown]
	v_fmac_f64_e32 v[0:1], v[4:5], v[6:7]
	v_mul_f64 v[4:5], v[42:43], v[2:3]
	v_accvgpr_read_b32 v6, a138
	v_mul_f64 v[4:5], v[58:59], v[4:5]
	v_accvgpr_read_b32 v7, a139
	v_fmac_f64_e32 v[0:1], v[4:5], v[6:7]
	scratch_load_dwordx4 v[4:7], off, off offset:16 ; 16-byte Folded Reload
	v_mul_f64 v[2:3], v[208:209], v[2:3]
	v_mul_f64 v[2:3], v[62:63], v[2:3]
	v_accvgpr_read_b32 v8, a140
	v_accvgpr_read_b32 v9, a141
	s_waitcnt vmcnt(0)
	v_accvgpr_read_b32 v6, a120
	v_accvgpr_read_b32 v7, a121
	;; [unrolled: 1-line block ×4, first 2 shown]
	v_fmac_f64_e32 v[0:1], v[2:3], v[4:5]
	scratch_load_dwordx2 v[2:3], off, off offset:824 ; 8-byte Folded Reload
	s_waitcnt vmcnt(0)
	v_mul_f64 v[2:3], v[72:73], v[2:3]
	v_mul_f64 v[4:5], v[28:29], v[2:3]
	;; [unrolled: 1-line block ×3, first 2 shown]
	v_fmac_f64_e32 v[0:1], v[4:5], v[6:7]
	v_mul_f64 v[4:5], v[30:31], v[2:3]
	v_accvgpr_read_b32 v6, a56
	v_mul_f64 v[4:5], v[50:51], v[4:5]
	v_accvgpr_read_b32 v7, a57
	v_accvgpr_read_b32 v8, a58
	;; [unrolled: 1-line block ×3, first 2 shown]
	v_fmac_f64_e32 v[0:1], v[4:5], v[6:7]
	v_mul_f64 v[4:5], v[40:41], v[2:3]
	v_accvgpr_read_b32 v6, a104
	v_mul_f64 v[4:5], v[54:55], v[4:5]
	v_accvgpr_read_b32 v7, a105
	v_accvgpr_read_b32 v8, a106
	;; [unrolled: 1-line block ×3, first 2 shown]
	v_fmac_f64_e32 v[0:1], v[4:5], v[6:7]
	v_mul_f64 v[4:5], v[42:43], v[2:3]
	v_accvgpr_read_b32 v6, a48
	v_mul_f64 v[4:5], v[58:59], v[4:5]
	v_accvgpr_read_b32 v7, a49
	v_mul_f64 v[2:3], v[208:209], v[2:3]
	v_fmac_f64_e32 v[0:1], v[4:5], v[6:7]
	v_mul_f64 v[2:3], v[62:63], v[2:3]
	v_fmac_f64_e32 v[0:1], v[2:3], v[82:83]
	scratch_load_dwordx2 v[2:3], off, off offset:856 ; 8-byte Folded Reload
	v_accvgpr_read_b32 v8, a50
	v_accvgpr_read_b32 v9, a51
	;; [unrolled: 1-line block ×6, first 2 shown]
	s_waitcnt vmcnt(0)
	v_mul_f64 v[2:3], v[76:77], v[2:3]
	v_mul_f64 v[4:5], v[28:29], v[2:3]
	;; [unrolled: 1-line block ×3, first 2 shown]
	v_fmac_f64_e32 v[0:1], v[4:5], v[88:89]
	v_mul_f64 v[4:5], v[30:31], v[2:3]
	v_mul_f64 v[4:5], v[50:51], v[4:5]
	v_fmac_f64_e32 v[0:1], v[4:5], v[6:7]
	v_mul_f64 v[4:5], v[40:41], v[2:3]
	v_accvgpr_read_b32 v6, a92
	v_mul_f64 v[4:5], v[54:55], v[4:5]
	v_accvgpr_read_b32 v7, a93
	v_accvgpr_read_b32 v8, a94
	;; [unrolled: 1-line block ×3, first 2 shown]
	v_fmac_f64_e32 v[0:1], v[4:5], v[6:7]
	v_mul_f64 v[4:5], v[42:43], v[2:3]
	v_accvgpr_read_b32 v6, a44
	v_mul_f64 v[4:5], v[58:59], v[4:5]
	v_accvgpr_read_b32 v7, a45
	v_fmac_f64_e32 v[0:1], v[4:5], v[6:7]
	v_mul_f64 v[2:3], v[208:209], v[2:3]
	v_accvgpr_read_b32 v4, a84
	v_mul_f64 v[2:3], v[62:63], v[2:3]
	v_accvgpr_read_b32 v5, a85
	v_fmac_f64_e32 v[0:1], v[2:3], v[4:5]
	scratch_load_dwordx2 v[2:3], off, off offset:872 ; 8-byte Folded Reload
	v_accvgpr_read_b32 v8, a46
	v_accvgpr_read_b32 v9, a47
	;; [unrolled: 1-line block ×8, first 2 shown]
	s_waitcnt vmcnt(0)
	v_mul_f64 v[2:3], v[80:81], v[2:3]
	v_mul_f64 v[4:5], v[28:29], v[2:3]
	;; [unrolled: 1-line block ×3, first 2 shown]
	v_fmac_f64_e32 v[0:1], v[4:5], v[6:7]
	v_mul_f64 v[4:5], v[30:31], v[2:3]
	v_accvgpr_read_b32 v6, a28
	v_mul_f64 v[4:5], v[50:51], v[4:5]
	v_accvgpr_read_b32 v7, a29
	v_fmac_f64_e32 v[0:1], v[4:5], v[6:7]
	v_mul_f64 v[4:5], v[40:41], v[2:3]
	v_accvgpr_read_b32 v8, a30
	v_accvgpr_read_b32 v9, a31
	v_mul_f64 v[4:5], v[54:55], v[4:5]
	v_fmac_f64_e32 v[0:1], v[4:5], v[100:101]
	v_mul_f64 v[4:5], v[42:43], v[2:3]
	v_accvgpr_read_b32 v6, a24
	v_mul_f64 v[4:5], v[58:59], v[4:5]
	v_accvgpr_read_b32 v7, a25
	v_mul_f64 v[2:3], v[208:209], v[2:3]
	v_fmac_f64_e32 v[0:1], v[4:5], v[6:7]
	v_mul_f64 v[2:3], v[62:63], v[2:3]
	v_fmac_f64_e32 v[0:1], v[2:3], v[90:91]
	scratch_load_dwordx2 v[2:3], off, off offset:888 ; 8-byte Folded Reload
	v_accvgpr_read_b32 v8, a26
	v_accvgpr_read_b32 v9, a27
	;; [unrolled: 1-line block ×6, first 2 shown]
	s_waitcnt vmcnt(0)
	v_mul_f64 v[2:3], v[64:65], v[2:3]
	v_mul_f64 v[4:5], v[28:29], v[2:3]
	;; [unrolled: 1-line block ×3, first 2 shown]
	v_fmac_f64_e32 v[0:1], v[94:95], v[4:5]
	v_mul_f64 v[4:5], v[30:31], v[2:3]
	v_mul_f64 v[4:5], v[50:51], v[4:5]
	v_fmac_f64_e32 v[0:1], v[96:97], v[4:5]
	v_mul_f64 v[4:5], v[40:41], v[2:3]
	v_mul_f64 v[4:5], v[54:55], v[4:5]
	;; [unrolled: 3-line block ×3, first 2 shown]
	v_mul_f64 v[2:3], v[208:209], v[2:3]
	v_fmac_f64_e32 v[0:1], v[102:103], v[4:5]
	v_mul_f64 v[2:3], v[62:63], v[2:3]
	v_fmac_f64_e32 v[0:1], v[2:3], v[84:85]
	scratch_load_dwordx2 v[2:3], off, off offset:904 ; 8-byte Folded Reload
	v_accvgpr_read_b32 v6, a32
	v_accvgpr_read_b32 v7, a33
	ds_read_b128 v[18:21], v127 offset:256
	ds_read_b128 v[12:15], v127 offset:272
	v_accvgpr_read_b32 v8, a34
	v_accvgpr_read_b32 v9, a35
	ds_read_b128 v[8:11], v127 offset:288
	ds_read_b128 v[194:197], v127 offset:928
	s_waitcnt lgkmcnt(3)
	v_accvgpr_write_b32 a75, v19
	v_accvgpr_write_b32 a74, v18
	s_waitcnt lgkmcnt(2)
	scratch_store_dwordx4 off, v[12:15], off offset:936 ; 16-byte Folded Spill
	s_waitcnt lgkmcnt(1)
	scratch_store_dwordx4 off, v[8:11], off offset:1240 ; 16-byte Folded Spill
	scratch_load_dword v126, off, off offset:1884 ; 4-byte Folded Reload
	scratch_load_dword v125, off, off offset:1964 ; 4-byte Folded Reload
	scratch_load_dwordx4 a[194:197], off, off offset:1852 ; 16-byte Folded Reload
	scratch_load_dwordx4 a[178:181], off, off offset:1836 ; 16-byte Folded Reload
	;; [unrolled: 1-line block ×3, first 2 shown]
	v_add_co_u32_e32 v94, vcc, s5, v60
	s_waitcnt vmcnt(7)
	v_mul_f64 v[2:3], v[68:69], v[2:3]
	v_mul_f64 v[4:5], v[28:29], v[2:3]
	;; [unrolled: 1-line block ×3, first 2 shown]
	v_fmac_f64_e32 v[0:1], v[4:5], v[104:105]
	v_mul_f64 v[4:5], v[30:31], v[2:3]
	v_mul_f64 v[4:5], v[50:51], v[4:5]
	v_fmac_f64_e32 v[0:1], v[4:5], v[6:7]
	v_mul_f64 v[4:5], v[40:41], v[2:3]
	v_mul_f64 v[4:5], v[54:55], v[4:5]
	;; [unrolled: 3-line block ×3, first 2 shown]
	v_fmac_f64_e32 v[0:1], v[4:5], v[20:21]
	ds_read2_b64 v[18:21], v127 offset0:33 offset1:34
	v_mul_f64 v[2:3], v[208:209], v[2:3]
	v_mul_f64 v[2:3], v[62:63], v[2:3]
	ds_read_b128 v[6:9], v127 offset:304
	v_addc_co_u32_e32 v95, vcc, 0, v61, vcc
	s_waitcnt lgkmcnt(1)
	v_fmac_f64_e32 v[0:1], v[2:3], v[20:21]
	scratch_load_dwordx2 v[2:3], off, off offset:840 ; 8-byte Folded Reload
	s_waitcnt lgkmcnt(0)
	v_accvgpr_write_b32 a83, v7
	v_accvgpr_write_b32 a82, v6
	;; [unrolled: 1-line block ×4, first 2 shown]
	v_add_co_u32_e32 v128, vcc, s9, v60
	s_waitcnt vmcnt(0)
	v_mul_f64 v[2:3], v[72:73], v[2:3]
	v_mul_f64 v[4:5], v[28:29], v[2:3]
	;; [unrolled: 1-line block ×3, first 2 shown]
	v_fmac_f64_e32 v[0:1], v[4:5], v[14:15]
	ds_read2_b64 v[14:17], v127 offset0:35 offset1:36
	v_mul_f64 v[4:5], v[30:31], v[2:3]
	v_mul_f64 v[4:5], v[50:51], v[4:5]
	v_addc_co_u32_e32 v129, vcc, 0, v61, vcc
	s_waitcnt lgkmcnt(0)
	v_fmac_f64_e32 v[0:1], v[4:5], v[16:17]
	v_mul_f64 v[4:5], v[40:41], v[2:3]
	v_mul_f64 v[4:5], v[54:55], v[4:5]
	v_fmac_f64_e32 v[0:1], v[4:5], v[10:11]
	ds_read2_b64 v[10:13], v127 offset0:37 offset1:38
	v_mul_f64 v[4:5], v[42:43], v[2:3]
	v_mul_f64 v[4:5], v[58:59], v[4:5]
	;; [unrolled: 1-line block ×4, first 2 shown]
	s_waitcnt lgkmcnt(0)
	v_fmac_f64_e32 v[0:1], v[4:5], v[12:13]
	v_fmac_f64_e32 v[0:1], v[2:3], v[8:9]
	scratch_load_dwordx2 v[2:3], off, off offset:808 ; 8-byte Folded Reload
	ds_read2_b64 v[6:9], v127 offset0:39 offset1:40
	scratch_store_dwordx4 off, v[14:17], off offset:920 ; 16-byte Folded Spill
	scratch_load_dwordx4 v[16:19], off, off offset:576 ; 16-byte Folded Reload
	v_accvgpr_read_b32 v12, a194
	v_accvgpr_read_b32 v13, a195
	s_waitcnt lgkmcnt(0)
	v_accvgpr_write_b32 a91, v7
	v_accvgpr_write_b32 a90, v6
	v_accvgpr_read_b32 v14, a196
	v_accvgpr_read_b32 v15, a197
	v_accvgpr_write_b32 a87, v11
	v_accvgpr_write_b32 a86, v10
	s_waitcnt vmcnt(2)
	v_mul_f64 v[2:3], v[76:77], v[2:3]
	v_mul_f64 v[4:5], v[28:29], v[2:3]
	;; [unrolled: 1-line block ×3, first 2 shown]
	v_fmac_f64_e32 v[0:1], v[4:5], v[8:9]
	ds_read_b128 v[6:9], v127 offset:320
	v_mul_f64 v[4:5], v[30:31], v[2:3]
	v_mul_f64 v[4:5], v[50:51], v[4:5]
	s_waitcnt vmcnt(0)
	v_mov_b64_e32 v[24:25], v[18:19]
	v_mov_b64_e32 v[22:23], v[16:17]
	s_waitcnt lgkmcnt(0)
	scratch_store_dwordx4 off, v[6:9], off offset:952 ; 16-byte Folded Spill
	v_fmac_f64_e32 v[0:1], v[4:5], v[8:9]
	ds_read2_b64 v[6:9], v127 offset0:41 offset1:42
	v_mul_f64 v[4:5], v[40:41], v[2:3]
	v_mul_f64 v[4:5], v[54:55], v[4:5]
	s_waitcnt lgkmcnt(0)
	scratch_store_dwordx4 off, v[6:9], off offset:968 ; 16-byte Folded Spill
	v_fmac_f64_e32 v[0:1], v[4:5], v[8:9]
	ds_read_b128 v[6:9], v127 offset:336
	v_mul_f64 v[4:5], v[42:43], v[2:3]
	v_mul_f64 v[4:5], v[58:59], v[4:5]
	;; [unrolled: 1-line block ×4, first 2 shown]
	s_waitcnt lgkmcnt(0)
	v_accvgpr_write_b32 a95, v7
	v_fmac_f64_e32 v[0:1], v[4:5], v[8:9]
	v_accvgpr_write_b32 a94, v6
	ds_read2_b64 v[4:7], v127 offset0:43 offset1:44
	s_waitcnt lgkmcnt(0)
	v_fmac_f64_e32 v[0:1], v[2:3], v[6:7]
	scratch_load_dwordx2 v[2:3], off, off offset:760 ; 8-byte Folded Reload
	s_waitcnt vmcnt(0)
	v_mul_f64 v[2:3], v[80:81], v[2:3]
	scratch_store_dwordx4 off, v[4:7], off offset:984 ; 16-byte Folded Spill
	ds_read_b128 v[6:9], v127 offset:352
	s_waitcnt lgkmcnt(0)
	scratch_store_dwordx4 off, v[6:9], off offset:1032 ; 16-byte Folded Spill
	v_mul_f64 v[4:5], v[28:29], v[2:3]
	v_mul_f64 v[4:5], v[46:47], v[4:5]
	v_fmac_f64_e32 v[0:1], v[4:5], v[8:9]
	ds_read2_b64 v[6:9], v127 offset0:45 offset1:46
	v_mul_f64 v[4:5], v[30:31], v[2:3]
	v_mul_f64 v[4:5], v[50:51], v[4:5]
	s_waitcnt lgkmcnt(0)
	v_accvgpr_write_b32 a99, v7
	v_fmac_f64_e32 v[0:1], v[4:5], v[8:9]
	v_accvgpr_write_b32 a98, v6
	ds_read_b128 v[6:9], v127 offset:368
	v_mul_f64 v[4:5], v[40:41], v[2:3]
	v_mul_f64 v[4:5], v[54:55], v[4:5]
	s_waitcnt lgkmcnt(0)
	v_accvgpr_write_b32 a103, v7
	v_fmac_f64_e32 v[0:1], v[4:5], v[8:9]
	v_accvgpr_write_b32 a102, v6
	ds_read2_b64 v[6:9], v127 offset0:47 offset1:48
	v_mul_f64 v[4:5], v[42:43], v[2:3]
	v_mul_f64 v[4:5], v[58:59], v[4:5]
	;; [unrolled: 1-line block ×4, first 2 shown]
	s_waitcnt lgkmcnt(0)
	scratch_store_dwordx4 off, v[6:9], off offset:1048 ; 16-byte Folded Spill
	v_fmac_f64_e32 v[0:1], v[4:5], v[8:9]
	ds_read_b128 v[4:7], v127 offset:384
	ds_read2_b64 v[8:11], v126 offset0:8 offset1:12
	s_waitcnt lgkmcnt(1)
	v_accvgpr_write_b32 a107, v5
	v_fmac_f64_e32 v[0:1], v[2:3], v[6:7]
	v_accvgpr_write_b32 a106, v4
	ds_read2_b64 v[2:5], v126 offset0:4 offset1:8
	s_waitcnt lgkmcnt(1)
	v_accvgpr_write_b32 a183, v9
	v_accvgpr_write_b32 a182, v8
	s_waitcnt lgkmcnt(0)
	scratch_store_dwordx4 off, v[2:5], off offset:1080 ; 16-byte Folded Spill
	s_nop 1
	v_mul_f64 v[2:3], v[4:5], v[14:15]
	ds_read2_b64 v[12:15], v127 offset0:49 offset1:50
	v_mul_f64 v[4:5], v[16:17], v[2:3]
	v_mul_f64 v[4:5], v[64:65], v[4:5]
	;; [unrolled: 1-line block ×4, first 2 shown]
	s_waitcnt lgkmcnt(0)
	scratch_store_dwordx4 off, v[12:15], off offset:1784 ; 16-byte Folded Spill
	v_fmac_f64_e32 v[0:1], v[14:15], v[6:7]
	ds_read_b128 v[12:15], v127 offset:400
	v_mul_f64 v[6:7], v[30:31], v[4:5]
	v_mul_f64 v[6:7], v[50:51], v[6:7]
	s_waitcnt lgkmcnt(0)
	v_accvgpr_write_b32 a253, v13
	v_fmac_f64_e32 v[0:1], v[14:15], v[6:7]
	v_accvgpr_write_b32 a252, v12
	ds_read2_b64 v[12:15], v127 offset0:51 offset1:52
	v_mul_f64 v[6:7], v[40:41], v[4:5]
	v_mul_f64 v[6:7], v[54:55], v[6:7]
	s_waitcnt lgkmcnt(0)
	scratch_store_dwordx4 off, v[12:15], off offset:544 ; 16-byte Folded Spill
	v_fmac_f64_e32 v[0:1], v[14:15], v[6:7]
	ds_read_b128 v[12:15], v127 offset:416
	v_mul_f64 v[6:7], v[42:43], v[4:5]
	v_mul_f64 v[6:7], v[58:59], v[6:7]
	;; [unrolled: 1-line block ×4, first 2 shown]
	s_waitcnt lgkmcnt(0)
	scratch_store_dwordx4 off, v[12:15], off offset:1496 ; 16-byte Folded Spill
	v_fmac_f64_e32 v[0:1], v[14:15], v[6:7]
	ds_read2_b64 v[12:15], v127 offset0:53 offset1:54
	s_waitcnt lgkmcnt(0)
	v_fmac_f64_e32 v[0:1], v[4:5], v[14:15]
	v_mul_f64 v[4:5], v[18:19], v[2:3]
	scratch_load_dwordx4 v[16:19], off, off offset:592 ; 16-byte Folded Reload
	v_mul_f64 v[4:5], v[68:69], v[4:5]
	scratch_store_dwordx4 off, v[12:15], off offset:560 ; 16-byte Folded Spill
	ds_read_b128 v[12:15], v127 offset:432
	v_mul_f64 v[6:7], v[28:29], v[4:5]
	v_mul_f64 v[6:7], v[46:47], v[6:7]
	s_waitcnt lgkmcnt(0)
	scratch_store_dwordx4 off, v[12:15], off offset:760 ; 16-byte Folded Spill
	v_fmac_f64_e32 v[0:1], v[6:7], v[14:15]
	ds_read2_b64 v[12:15], v127 offset0:55 offset1:56
	v_mul_f64 v[6:7], v[30:31], v[4:5]
	v_mul_f64 v[6:7], v[50:51], v[6:7]
	s_waitcnt lgkmcnt(0)
	scratch_store_dwordx4 off, v[12:15], off offset:1160 ; 16-byte Folded Spill
	v_fmac_f64_e32 v[0:1], v[6:7], v[14:15]
	ds_read_b128 v[12:15], v127 offset:448
	v_mul_f64 v[6:7], v[40:41], v[4:5]
	v_mul_f64 v[6:7], v[54:55], v[6:7]
	s_waitcnt lgkmcnt(0)
	scratch_store_dwordx4 off, v[12:15], off offset:1064 ; 16-byte Folded Spill
	v_fmac_f64_e32 v[0:1], v[6:7], v[14:15]
	ds_read2_b64 v[12:15], v127 offset0:57 offset1:58
	v_mul_f64 v[6:7], v[42:43], v[4:5]
	v_mul_f64 v[6:7], v[58:59], v[6:7]
	;; [unrolled: 1-line block ×4, first 2 shown]
	s_waitcnt lgkmcnt(0)
	scratch_store_dwordx4 off, v[12:15], off offset:776 ; 16-byte Folded Spill
	v_fmac_f64_e32 v[0:1], v[6:7], v[14:15]
	ds_read_b128 v[12:15], v127 offset:464
	s_waitcnt lgkmcnt(0)
	scratch_store_dwordx4 off, v[12:15], off offset:1000 ; 16-byte Folded Spill
	v_fmac_f64_e32 v[0:1], v[4:5], v[14:15]
	ds_read2_b64 v[12:15], v127 offset0:59 offset1:60
	s_waitcnt lgkmcnt(0)
	v_accvgpr_write_b32 a43, v13
	v_accvgpr_write_b32 a42, v12
	s_waitcnt vmcnt(6)
	v_mul_f64 v[4:5], v[16:17], v[2:3]
	v_mul_f64 v[4:5], v[72:73], v[4:5]
	;; [unrolled: 1-line block ×4, first 2 shown]
	v_fmac_f64_e32 v[0:1], v[6:7], v[14:15]
	ds_read_b128 v[12:15], v127 offset:480
	v_mul_f64 v[6:7], v[30:31], v[4:5]
	v_mul_f64 v[6:7], v[50:51], v[6:7]
	s_waitcnt lgkmcnt(0)
	scratch_store_dwordx4 off, v[12:15], off offset:792 ; 16-byte Folded Spill
	v_fmac_f64_e32 v[0:1], v[6:7], v[14:15]
	ds_read2_b64 v[12:15], v127 offset0:61 offset1:62
	v_mul_f64 v[6:7], v[40:41], v[4:5]
	v_mul_f64 v[6:7], v[54:55], v[6:7]
	s_waitcnt lgkmcnt(0)
	scratch_store_dwordx4 off, v[12:15], off offset:808 ; 16-byte Folded Spill
	v_fmac_f64_e32 v[0:1], v[6:7], v[14:15]
	ds_read_b128 v[12:15], v127 offset:496
	v_mul_f64 v[6:7], v[42:43], v[4:5]
	v_mul_f64 v[6:7], v[58:59], v[6:7]
	;; [unrolled: 1-line block ×4, first 2 shown]
	s_waitcnt lgkmcnt(0)
	v_accvgpr_write_b32 a47, v13
	v_fmac_f64_e32 v[0:1], v[6:7], v[14:15]
	v_accvgpr_write_b32 a46, v12
	ds_read2_b64 v[12:15], v127 offset0:63 offset1:64
	s_waitcnt lgkmcnt(0)
	v_fmac_f64_e32 v[0:1], v[4:5], v[14:15]
	v_mul_f64 v[4:5], v[18:19], v[2:3]
	v_mov_b64_e32 v[20:21], v[18:19]
	v_mov_b64_e32 v[18:19], v[16:17]
	scratch_load_dwordx2 v[16:17], off, off offset:608 ; 8-byte Folded Reload
	v_mul_f64 v[4:5], v[76:77], v[4:5]
	scratch_store_dwordx4 off, v[12:15], off offset:824 ; 16-byte Folded Spill
	ds_read_b128 v[12:15], v127 offset:512
	v_mul_f64 v[6:7], v[28:29], v[4:5]
	v_mul_f64 v[6:7], v[46:47], v[6:7]
	s_waitcnt lgkmcnt(0)
	scratch_store_dwordx4 off, v[12:15], off offset:1208 ; 16-byte Folded Spill
	v_fmac_f64_e32 v[0:1], v[6:7], v[14:15]
	ds_read2_b64 v[12:15], v127 offset0:65 offset1:66
	v_mul_f64 v[6:7], v[30:31], v[4:5]
	v_mul_f64 v[6:7], v[50:51], v[6:7]
	s_waitcnt lgkmcnt(0)
	v_accvgpr_write_b32 a55, v13
	v_fmac_f64_e32 v[0:1], v[6:7], v[14:15]
	v_accvgpr_write_b32 a54, v12
	ds_read_b128 v[12:15], v127 offset:528
	v_mul_f64 v[6:7], v[40:41], v[4:5]
	v_mul_f64 v[6:7], v[54:55], v[6:7]
	s_waitcnt lgkmcnt(0)
	scratch_store_dwordx4 off, v[12:15], off offset:840 ; 16-byte Folded Spill
	v_fmac_f64_e32 v[0:1], v[6:7], v[14:15]
	ds_read2_b64 v[12:15], v127 offset0:67 offset1:68
	v_mul_f64 v[6:7], v[42:43], v[4:5]
	v_mul_f64 v[6:7], v[58:59], v[6:7]
	;; [unrolled: 1-line block ×4, first 2 shown]
	s_waitcnt lgkmcnt(0)
	scratch_store_dwordx4 off, v[12:15], off offset:856 ; 16-byte Folded Spill
	v_fmac_f64_e32 v[0:1], v[6:7], v[14:15]
	ds_read_b128 v[12:15], v127 offset:544
	s_waitcnt lgkmcnt(0)
	v_accvgpr_write_b32 a59, v13
	v_fmac_f64_e32 v[0:1], v[4:5], v[14:15]
	v_accvgpr_write_b32 a58, v12
	ds_read2_b64 v[12:15], v127 offset0:69 offset1:70
	s_waitcnt lgkmcnt(0)
	v_accvgpr_write_b32 a63, v13
	v_accvgpr_write_b32 a62, v12
	s_waitcnt vmcnt(4)
	v_mul_f64 v[2:3], v[16:17], v[2:3]
	v_mul_f64 v[2:3], v[80:81], v[2:3]
	v_mul_f64 v[4:5], v[28:29], v[2:3]
	v_mul_f64 v[4:5], v[46:47], v[4:5]
	v_fmac_f64_e32 v[0:1], v[4:5], v[14:15]
	ds_read_b128 v[12:15], v127 offset:560
	v_mul_f64 v[4:5], v[30:31], v[2:3]
	v_mul_f64 v[4:5], v[50:51], v[4:5]
	s_waitcnt lgkmcnt(0)
	scratch_store_dwordx4 off, v[12:15], off offset:872 ; 16-byte Folded Spill
	v_fmac_f64_e32 v[0:1], v[4:5], v[14:15]
	ds_read2_b64 v[12:15], v127 offset0:71 offset1:72
	v_mul_f64 v[4:5], v[40:41], v[2:3]
	v_mul_f64 v[4:5], v[54:55], v[4:5]
	s_waitcnt lgkmcnt(0)
	scratch_store_dwordx4 off, v[12:15], off offset:888 ; 16-byte Folded Spill
	v_fmac_f64_e32 v[0:1], v[4:5], v[14:15]
	ds_read_b128 v[12:15], v127 offset:576
	v_mul_f64 v[4:5], v[42:43], v[2:3]
	v_mul_f64 v[4:5], v[58:59], v[4:5]
	;; [unrolled: 1-line block ×4, first 2 shown]
	s_waitcnt lgkmcnt(0)
	v_fmac_f64_e32 v[0:1], v[4:5], v[14:15]
	ds_read2_b64 v[4:7], v127 offset0:73 offset1:74
	v_accvgpr_write_b32 a67, v13
	v_accvgpr_write_b32 a66, v12
	s_waitcnt lgkmcnt(0)
	scratch_store_dwordx4 off, v[4:7], off offset:904 ; 16-byte Folded Spill
	v_fmac_f64_e32 v[0:1], v[2:3], v[6:7]
	v_accvgpr_read_b32 v2, a178
	v_accvgpr_read_b32 v3, a179
	;; [unrolled: 1-line block ×4, first 2 shown]
	v_mul_f64 v[2:3], v[10:11], v[4:5]
	ds_read_b128 v[8:11], v127 offset:592
	v_mul_f64 v[4:5], v[22:23], v[2:3]
	v_mul_f64 v[4:5], v[64:65], v[4:5]
	;; [unrolled: 1-line block ×4, first 2 shown]
	s_waitcnt lgkmcnt(0)
	v_accvgpr_write_b32 a71, v9
	v_fmac_f64_e32 v[0:1], v[10:11], v[6:7]
	v_accvgpr_write_b32 a70, v8
	ds_read2_b64 v[8:11], v127 offset0:75 offset1:76
	v_mul_f64 v[6:7], v[30:31], v[4:5]
	v_mul_f64 v[6:7], v[50:51], v[6:7]
	s_waitcnt lgkmcnt(0)
	scratch_store_dwordx4 off, v[8:11], off offset:512 ; 16-byte Folded Spill
	v_fmac_f64_e32 v[0:1], v[10:11], v[6:7]
	ds_read_b128 v[8:11], v127 offset:608
	v_mul_f64 v[6:7], v[40:41], v[4:5]
	v_mul_f64 v[6:7], v[54:55], v[6:7]
	s_waitcnt lgkmcnt(0)
	scratch_store_dwordx4 off, v[8:11], off offset:496 ; 16-byte Folded Spill
	v_fmac_f64_e32 v[0:1], v[10:11], v[6:7]
	ds_read2_b64 v[8:11], v127 offset0:77 offset1:78
	v_mul_f64 v[6:7], v[42:43], v[4:5]
	v_mul_f64 v[6:7], v[58:59], v[6:7]
	;; [unrolled: 1-line block ×4, first 2 shown]
	s_waitcnt lgkmcnt(0)
	scratch_store_dwordx4 off, v[8:11], off offset:480 ; 16-byte Folded Spill
	v_fmac_f64_e32 v[0:1], v[10:11], v[6:7]
	ds_read_b128 v[6:9], v127 offset:624
	s_waitcnt lgkmcnt(0)
	scratch_store_dwordx4 off, v[6:9], off offset:464 ; 16-byte Folded Spill
	v_fmac_f64_e32 v[0:1], v[4:5], v[8:9]
	ds_read2_b64 v[8:11], v127 offset0:79 offset1:80
	v_mul_f64 v[4:5], v[24:25], v[2:3]
	v_mul_f64 v[4:5], v[68:69], v[4:5]
	;; [unrolled: 1-line block ×4, first 2 shown]
	s_waitcnt lgkmcnt(0)
	scratch_store_dwordx4 off, v[8:11], off offset:448 ; 16-byte Folded Spill
	v_fmac_f64_e32 v[0:1], v[6:7], v[10:11]
	ds_read_b128 v[8:11], v127 offset:640
	v_mul_f64 v[6:7], v[30:31], v[4:5]
	v_mul_f64 v[6:7], v[50:51], v[6:7]
	s_waitcnt lgkmcnt(0)
	scratch_store_dwordx4 off, v[8:11], off offset:432 ; 16-byte Folded Spill
	v_fmac_f64_e32 v[0:1], v[6:7], v[10:11]
	ds_read2_b64 v[8:11], v127 offset0:81 offset1:82
	v_mul_f64 v[6:7], v[40:41], v[4:5]
	v_mul_f64 v[6:7], v[54:55], v[6:7]
	s_waitcnt lgkmcnt(0)
	v_accvgpr_write_b32 a239, v9
	v_fmac_f64_e32 v[0:1], v[6:7], v[10:11]
	v_accvgpr_write_b32 a238, v8
	ds_read_b128 v[8:11], v127 offset:656
	v_mul_f64 v[6:7], v[42:43], v[4:5]
	v_mul_f64 v[6:7], v[58:59], v[6:7]
	;; [unrolled: 1-line block ×4, first 2 shown]
	s_waitcnt lgkmcnt(0)
	scratch_store_dwordx4 off, v[8:11], off offset:416 ; 16-byte Folded Spill
	v_fmac_f64_e32 v[0:1], v[6:7], v[10:11]
	ds_read2_b64 v[6:9], v127 offset0:83 offset1:84
	s_waitcnt lgkmcnt(0)
	v_fmac_f64_e32 v[0:1], v[4:5], v[8:9]
	ds_read_b128 v[8:11], v127 offset:672
	v_mul_f64 v[4:5], v[18:19], v[2:3]
	v_accvgpr_write_b32 a235, v7
	v_mul_f64 v[4:5], v[72:73], v[4:5]
	v_accvgpr_write_b32 a234, v6
	v_mul_f64 v[6:7], v[28:29], v[4:5]
	v_mul_f64 v[6:7], v[46:47], v[6:7]
	s_waitcnt lgkmcnt(0)
	scratch_store_dwordx4 off, v[8:11], off offset:400 ; 16-byte Folded Spill
	v_fmac_f64_e32 v[0:1], v[6:7], v[10:11]
	ds_read2_b64 v[8:11], v127 offset0:85 offset1:86
	v_mul_f64 v[6:7], v[30:31], v[4:5]
	v_mul_f64 v[6:7], v[50:51], v[6:7]
	s_waitcnt lgkmcnt(0)
	scratch_store_dwordx4 off, v[8:11], off offset:1752 ; 16-byte Folded Spill
	v_fmac_f64_e32 v[0:1], v[6:7], v[10:11]
	ds_read_b128 v[8:11], v127 offset:688
	v_mul_f64 v[6:7], v[40:41], v[4:5]
	v_mul_f64 v[6:7], v[54:55], v[6:7]
	s_waitcnt lgkmcnt(0)
	scratch_store_dwordx4 off, v[8:11], off offset:384 ; 16-byte Folded Spill
	v_fmac_f64_e32 v[0:1], v[6:7], v[10:11]
	ds_read2_b64 v[8:11], v127 offset0:87 offset1:88
	v_mul_f64 v[6:7], v[42:43], v[4:5]
	v_mul_f64 v[6:7], v[58:59], v[6:7]
	;; [unrolled: 1-line block ×4, first 2 shown]
	s_waitcnt lgkmcnt(0)
	scratch_store_dwordx4 off, v[8:11], off offset:1704 ; 16-byte Folded Spill
	v_fmac_f64_e32 v[0:1], v[6:7], v[10:11]
	ds_read_b128 v[6:9], v127 offset:704
	s_waitcnt lgkmcnt(0)
	scratch_store_dwordx4 off, v[6:9], off offset:368 ; 16-byte Folded Spill
	v_fmac_f64_e32 v[0:1], v[4:5], v[8:9]
	ds_read2_b64 v[8:11], v127 offset0:89 offset1:90
	v_mul_f64 v[4:5], v[20:21], v[2:3]
	v_mul_f64 v[4:5], v[76:77], v[4:5]
	;; [unrolled: 1-line block ×4, first 2 shown]
	s_waitcnt lgkmcnt(0)
	scratch_store_dwordx4 off, v[8:11], off offset:1672 ; 16-byte Folded Spill
	v_fmac_f64_e32 v[0:1], v[6:7], v[10:11]
	ds_read_b128 v[8:11], v127 offset:720
	v_mul_f64 v[6:7], v[30:31], v[4:5]
	v_mul_f64 v[6:7], v[50:51], v[6:7]
	;; [unrolled: 1-line block ×4, first 2 shown]
	s_waitcnt lgkmcnt(0)
	scratch_store_dwordx4 off, v[8:11], off offset:352 ; 16-byte Folded Spill
	v_fmac_f64_e32 v[0:1], v[6:7], v[10:11]
	ds_read2_b64 v[8:11], v127 offset0:91 offset1:92
	v_mul_f64 v[6:7], v[40:41], v[4:5]
	v_mul_f64 v[6:7], v[54:55], v[6:7]
	s_waitcnt lgkmcnt(0)
	scratch_store_dwordx4 off, v[8:11], off offset:336 ; 16-byte Folded Spill
	v_fmac_f64_e32 v[0:1], v[6:7], v[10:11]
	ds_read_b128 v[8:11], v127 offset:736
	v_mul_f64 v[6:7], v[42:43], v[4:5]
	v_mul_f64 v[6:7], v[58:59], v[6:7]
	;; [unrolled: 1-line block ×4, first 2 shown]
	s_waitcnt lgkmcnt(0)
	scratch_store_dwordx4 off, v[8:11], off offset:320 ; 16-byte Folded Spill
	v_fmac_f64_e32 v[0:1], v[6:7], v[10:11]
	ds_read2_b64 v[6:9], v127 offset0:93 offset1:94
	s_waitcnt lgkmcnt(0)
	scratch_store_dwordx4 off, v[6:9], off offset:304 ; 16-byte Folded Spill
	v_fmac_f64_e32 v[0:1], v[4:5], v[8:9]
	ds_read_b128 v[6:9], v127 offset:752
	v_mul_f64 v[4:5], v[28:29], v[2:3]
	v_mul_f64 v[4:5], v[46:47], v[4:5]
	s_waitcnt lgkmcnt(0)
	scratch_store_dwordx4 off, v[6:9], off offset:1560 ; 16-byte Folded Spill
	v_fmac_f64_e32 v[0:1], v[4:5], v[8:9]
	ds_read2_b64 v[6:9], v127 offset0:95 offset1:96
	v_mul_f64 v[4:5], v[30:31], v[2:3]
	v_mul_f64 v[4:5], v[50:51], v[4:5]
	s_waitcnt lgkmcnt(0)
	scratch_store_dwordx4 off, v[6:9], off offset:288 ; 16-byte Folded Spill
	v_fmac_f64_e32 v[0:1], v[4:5], v[8:9]
	ds_read_b128 v[6:9], v127 offset:768
	v_mul_f64 v[4:5], v[40:41], v[2:3]
	v_mul_f64 v[4:5], v[54:55], v[4:5]
	s_waitcnt lgkmcnt(0)
	scratch_store_dwordx4 off, v[6:9], off offset:1480 ; 16-byte Folded Spill
	v_fmac_f64_e32 v[0:1], v[4:5], v[8:9]
	ds_read2_b64 v[6:9], v127 offset0:97 offset1:98
	v_mul_f64 v[4:5], v[42:43], v[2:3]
	v_mul_f64 v[4:5], v[58:59], v[4:5]
	;; [unrolled: 1-line block ×4, first 2 shown]
	s_waitcnt lgkmcnt(0)
	scratch_store_dwordx4 off, v[6:9], off offset:272 ; 16-byte Folded Spill
	v_fmac_f64_e32 v[0:1], v[4:5], v[8:9]
	ds_read_b128 v[4:7], v127 offset:784
	v_accvgpr_read_b32 v8, a226
	v_accvgpr_read_b32 v9, a227
	;; [unrolled: 1-line block ×4, first 2 shown]
	s_waitcnt lgkmcnt(0)
	scratch_store_dwordx4 off, v[4:7], off offset:1400 ; 16-byte Folded Spill
	v_fmac_f64_e32 v[0:1], v[2:3], v[6:7]
	ds_read2_b64 v[2:5], v126 offset0:12 offset1:16
	s_waitcnt lgkmcnt(0)
	scratch_store_dwordx4 off, v[2:5], off offset:528 ; 16-byte Folded Spill
	s_nop 1
	v_mul_f64 v[2:3], v[4:5], v[10:11]
	ds_read2_b64 v[8:11], v127 offset0:99 offset1:100
	v_mul_f64 v[4:5], v[22:23], v[2:3]
	v_mul_f64 v[4:5], v[64:65], v[4:5]
	;; [unrolled: 1-line block ×4, first 2 shown]
	s_waitcnt lgkmcnt(0)
	scratch_store_dwordx4 off, v[8:11], off offset:256 ; 16-byte Folded Spill
	v_fmac_f64_e32 v[0:1], v[10:11], v[6:7]
	ds_read_b128 v[8:11], v127 offset:800
	v_mul_f64 v[6:7], v[30:31], v[4:5]
	v_mul_f64 v[6:7], v[50:51], v[6:7]
	s_waitcnt lgkmcnt(0)
	scratch_store_dwordx4 off, v[8:11], off offset:1868 ; 16-byte Folded Spill
	v_fmac_f64_e32 v[0:1], v[10:11], v[6:7]
	ds_read2_b64 v[8:11], v127 offset0:101 offset1:102
	v_mul_f64 v[6:7], v[40:41], v[4:5]
	v_mul_f64 v[6:7], v[54:55], v[6:7]
	s_waitcnt lgkmcnt(0)
	scratch_store_dwordx4 off, v[8:11], off offset:240 ; 16-byte Folded Spill
	v_fmac_f64_e32 v[0:1], v[10:11], v[6:7]
	ds_read_b128 v[8:11], v127 offset:816
	v_mul_f64 v[6:7], v[42:43], v[4:5]
	v_mul_f64 v[6:7], v[58:59], v[6:7]
	v_mul_f64 v[4:5], v[208:209], v[4:5]
	v_mul_f64 v[4:5], v[62:63], v[4:5]
	s_waitcnt lgkmcnt(0)
	v_accvgpr_write_b32 a219, v9
	v_fmac_f64_e32 v[0:1], v[10:11], v[6:7]
	v_accvgpr_write_b32 a218, v8
	ds_read2_b64 v[6:9], v127 offset0:103 offset1:104
	s_waitcnt lgkmcnt(0)
	scratch_store_dwordx4 off, v[6:9], off offset:224 ; 16-byte Folded Spill
	v_fmac_f64_e32 v[0:1], v[4:5], v[8:9]
	ds_read_b128 v[8:11], v127 offset:832
	v_mul_f64 v[4:5], v[24:25], v[2:3]
	v_mul_f64 v[4:5], v[68:69], v[4:5]
	;; [unrolled: 1-line block ×4, first 2 shown]
	s_waitcnt lgkmcnt(0)
	v_accvgpr_write_b32 a187, v9
	v_fmac_f64_e32 v[0:1], v[6:7], v[10:11]
	v_accvgpr_write_b32 a186, v8
	ds_read2_b64 v[8:11], v127 offset0:105 offset1:106
	v_mul_f64 v[6:7], v[30:31], v[4:5]
	v_mul_f64 v[6:7], v[50:51], v[6:7]
	s_waitcnt lgkmcnt(0)
	scratch_store_dwordx4 off, v[8:11], off offset:208 ; 16-byte Folded Spill
	v_fmac_f64_e32 v[0:1], v[6:7], v[10:11]
	ds_read_b128 v[8:11], v127 offset:848
	v_mul_f64 v[6:7], v[40:41], v[4:5]
	v_mul_f64 v[6:7], v[54:55], v[6:7]
	s_waitcnt lgkmcnt(0)
	v_accvgpr_write_b32 a207, v9
	v_fmac_f64_e32 v[0:1], v[6:7], v[10:11]
	v_accvgpr_write_b32 a206, v8
	ds_read2_b64 v[8:11], v127 offset0:107 offset1:108
	v_mul_f64 v[6:7], v[42:43], v[4:5]
	v_mul_f64 v[6:7], v[58:59], v[6:7]
	;; [unrolled: 1-line block ×4, first 2 shown]
	s_waitcnt lgkmcnt(0)
	scratch_store_dwordx4 off, v[8:11], off offset:176 ; 16-byte Folded Spill
	v_fmac_f64_e32 v[0:1], v[6:7], v[10:11]
	ds_read_b128 v[6:9], v127 offset:864
	s_waitcnt lgkmcnt(0)
	scratch_store_dwordx4 off, v[6:9], off offset:160 ; 16-byte Folded Spill
	v_fmac_f64_e32 v[0:1], v[4:5], v[8:9]
	ds_read2_b64 v[8:11], v127 offset0:109 offset1:110
	v_mul_f64 v[4:5], v[18:19], v[2:3]
	v_mul_f64 v[4:5], v[72:73], v[4:5]
	;; [unrolled: 1-line block ×4, first 2 shown]
	s_waitcnt lgkmcnt(0)
	v_accvgpr_write_b32 a199, v9
	v_fmac_f64_e32 v[0:1], v[6:7], v[10:11]
	v_accvgpr_write_b32 a198, v8
	ds_read_b128 v[8:11], v127 offset:880
	v_mul_f64 v[6:7], v[30:31], v[4:5]
	v_mul_f64 v[6:7], v[50:51], v[6:7]
	s_waitcnt lgkmcnt(0)
	scratch_store_dwordx4 off, v[8:11], off offset:144 ; 16-byte Folded Spill
	v_fmac_f64_e32 v[0:1], v[6:7], v[10:11]
	ds_read2_b64 v[8:11], v127 offset0:111 offset1:112
	v_mul_f64 v[6:7], v[40:41], v[4:5]
	v_mul_f64 v[6:7], v[54:55], v[6:7]
	s_waitcnt lgkmcnt(0)
	scratch_store_dwordx4 off, v[8:11], off offset:1016 ; 16-byte Folded Spill
	v_fmac_f64_e32 v[0:1], v[6:7], v[10:11]
	ds_read_b128 v[8:11], v127 offset:896
	v_mul_f64 v[6:7], v[42:43], v[4:5]
	v_mul_f64 v[6:7], v[58:59], v[6:7]
	;; [unrolled: 1-line block ×4, first 2 shown]
	s_waitcnt lgkmcnt(0)
	v_accvgpr_write_b32 a175, v9
	v_fmac_f64_e32 v[0:1], v[6:7], v[10:11]
	v_accvgpr_write_b32 a174, v8
	ds_read2_b64 v[6:9], v127 offset0:113 offset1:114
	s_waitcnt lgkmcnt(0)
	scratch_store_dwordx4 off, v[6:9], off offset:112 ; 16-byte Folded Spill
	v_fmac_f64_e32 v[0:1], v[4:5], v[8:9]
	ds_read_b128 v[8:11], v127 offset:912
	v_mul_f64 v[4:5], v[20:21], v[2:3]
	v_mul_f64 v[4:5], v[76:77], v[4:5]
	;; [unrolled: 1-line block ×4, first 2 shown]
	s_waitcnt lgkmcnt(0)
	v_accvgpr_write_b32 a243, v9
	v_fmac_f64_e32 v[0:1], v[6:7], v[10:11]
	v_accvgpr_write_b32 a242, v8
	ds_read2_b64 v[8:11], v127 offset0:115 offset1:116
	v_mul_f64 v[6:7], v[30:31], v[4:5]
	v_mul_f64 v[6:7], v[50:51], v[6:7]
	;; [unrolled: 1-line block ×4, first 2 shown]
	s_waitcnt lgkmcnt(0)
	v_accvgpr_write_b32 a171, v9
	v_fmac_f64_e32 v[0:1], v[6:7], v[10:11]
	v_accvgpr_write_b32 a170, v8
	ds_read2_b64 v[8:11], v127 offset0:117 offset1:118
	v_mul_f64 v[6:7], v[40:41], v[4:5]
	v_mul_f64 v[6:7], v[54:55], v[6:7]
	v_fmac_f64_e32 v[0:1], v[6:7], v[196:197]
	v_mul_f64 v[6:7], v[42:43], v[4:5]
	v_mul_f64 v[6:7], v[58:59], v[6:7]
	s_waitcnt lgkmcnt(0)
	v_accvgpr_write_b32 a115, v9
	v_fmac_f64_e32 v[0:1], v[6:7], v[10:11]
	v_accvgpr_write_b32 a114, v8
	ds_read_b128 v[6:9], v127 offset:944
	v_mul_f64 v[4:5], v[208:209], v[4:5]
	v_mul_f64 v[4:5], v[62:63], v[4:5]
	s_waitcnt lgkmcnt(0)
	scratch_store_dwordx4 off, v[6:9], off offset:192 ; 16-byte Folded Spill
	v_fmac_f64_e32 v[0:1], v[4:5], v[8:9]
	ds_read2_b64 v[6:9], v127 offset0:119 offset1:120
	v_mul_f64 v[4:5], v[28:29], v[2:3]
	v_mul_f64 v[4:5], v[46:47], v[4:5]
	s_waitcnt lgkmcnt(0)
	scratch_store_dwordx4 off, v[6:9], off offset:96 ; 16-byte Folded Spill
	v_fmac_f64_e32 v[0:1], v[4:5], v[8:9]
	ds_read_b128 v[6:9], v127 offset:960
	v_mul_f64 v[4:5], v[30:31], v[2:3]
	v_mul_f64 v[4:5], v[50:51], v[4:5]
	s_waitcnt lgkmcnt(0)
	v_accvgpr_write_b32 a247, v7
	v_fmac_f64_e32 v[0:1], v[4:5], v[8:9]
	v_accvgpr_write_b32 a246, v6
	ds_read2_b64 v[6:9], v127 offset0:121 offset1:122
	v_mul_f64 v[4:5], v[40:41], v[2:3]
	v_mul_f64 v[4:5], v[54:55], v[4:5]
	s_waitcnt lgkmcnt(0)
	v_fmac_f64_e32 v[0:1], v[4:5], v[8:9]
	v_mov_b64_e32 v[158:159], v[6:7]
	ds_read_b128 v[6:9], v127 offset:976
	v_mul_f64 v[4:5], v[42:43], v[2:3]
	v_mul_f64 v[4:5], v[58:59], v[4:5]
	;; [unrolled: 1-line block ×4, first 2 shown]
	s_waitcnt lgkmcnt(0)
	v_fmac_f64_e32 v[0:1], v[4:5], v[8:9]
	v_mov_b64_e32 v[58:59], v[6:7]
	ds_read2_b64 v[4:7], v127 offset0:123 offset1:124
	s_waitcnt lgkmcnt(0)
	v_fmac_f64_e32 v[0:1], v[2:3], v[6:7]
	scratch_store_dwordx4 off, v[4:7], off offset:128 ; 16-byte Folded Spill
	global_store_dwordx2 v[128:129], v[0:1], off offset:-4096
	ds_read_b64 v[16:17], v125
	ds_read2_b64 v[160:163], v127 offset0:124 offset1:126
	ds_read2_b64 v[188:191], v125 offset1:4
	ds_read2_b64 v[184:187], v127 offset0:129 offset1:130
	ds_read2_b64 v[180:183], v125 offset0:4 offset1:8
	;; [unrolled: 1-line block ×7, first 2 shown]
	scratch_load_dword v124, off, off offset:1960 ; 4-byte Folded Reload
	s_waitcnt vmcnt(0)
	ds_read_b64 v[18:19], v124
	ds_read_b128 v[80:83], v127 offset:1008
	ds_read2_b64 v[30:33], v124 offset1:4
	ds_read_b128 v[76:79], v127 offset:1040
	ds_read2_b64 v[26:29], v124 offset0:4 offset1:8
	ds_read_b128 v[72:75], v127 offset:1072
	ds_read2_b64 v[22:25], v124 offset0:8 offset1:12
	;; [unrolled: 2-line block ×3, first 2 shown]
	ds_read_b128 v[64:67], v127 offset:1136
	ds_read_b64 v[4:5], v126
	ds_read2_b64 v[46:49], v126 offset1:4
	scratch_load_dword v252, off, off offset:1816 ; 4-byte Folded Reload
	s_waitcnt vmcnt(0)
	ds_read_b64 v[6:7], v252
	ds_read_b64 v[8:9], v252 offset:32
	ds_read_b64 v[12:13], v127
	ds_read_b128 v[42:45], v127
	ds_read_b128 v[38:41], v127 offset:16
	ds_read_b128 v[34:37], v127 offset:32
	s_waitcnt lgkmcnt(14)
	v_accvgpr_write_b32 a111, v31
	s_waitcnt lgkmcnt(5)
	v_mul_f64 v[4:5], v[4:5], v[6:7]
	v_mul_f64 v[6:7], v[18:19], v[4:5]
	;; [unrolled: 1-line block ×5, first 2 shown]
	s_waitcnt lgkmcnt(3)
	v_fma_f64 v[20:21], v[12:13], v[10:11], 0
	v_mul_f64 v[10:11], v[190:191], v[6:7]
	v_mul_f64 v[10:11], v[186:187], v[10:11]
	s_waitcnt lgkmcnt(2)
	v_accvgpr_write_b32 a167, v43
	v_fmac_f64_e32 v[20:21], v[44:45], v[10:11]
	v_accvgpr_write_b32 a166, v42
	ds_read2_b64 v[42:45], v127 offset0:1 offset1:2
	v_mul_f64 v[10:11], v[182:183], v[6:7]
	v_mul_f64 v[10:11], v[178:179], v[10:11]
	s_waitcnt lgkmcnt(2)
	v_accvgpr_write_b32 a163, v39
	v_accvgpr_write_b32 a162, v38
	s_waitcnt lgkmcnt(0)
	v_fmac_f64_e32 v[20:21], v[44:45], v[10:11]
	v_mul_f64 v[10:11], v[174:175], v[6:7]
	v_mul_f64 v[10:11], v[170:171], v[10:11]
	v_fmac_f64_e32 v[20:21], v[40:41], v[10:11]
	ds_read2_b64 v[38:41], v127 offset0:3 offset1:4
	v_mul_f64 v[6:7], v[2:3], v[6:7]
	v_mul_f64 v[6:7], v[166:167], v[6:7]
	scratch_store_dwordx4 off, v[34:37], off offset:1256 ; 16-byte Folded Spill
	ds_read_b128 v[12:15], v127 offset:48
	s_waitcnt lgkmcnt(1)
	v_fmac_f64_e32 v[20:21], v[6:7], v[40:41]
	v_mul_f64 v[6:7], v[32:33], v[4:5]
	v_mul_f64 v[6:7], v[78:79], v[6:7]
	;; [unrolled: 1-line block ×4, first 2 shown]
	v_fmac_f64_e32 v[20:21], v[10:11], v[36:37]
	ds_read2_b64 v[34:37], v127 offset0:5 offset1:6
	v_mul_f64 v[10:11], v[190:191], v[6:7]
	v_mul_f64 v[10:11], v[186:187], v[10:11]
	s_waitcnt lgkmcnt(1)
	scratch_store_dwordx4 off, v[12:15], off offset:1224 ; 16-byte Folded Spill
	scratch_store_dwordx4 off, v[42:45], off offset:1464 ; 16-byte Folded Spill
	s_waitcnt lgkmcnt(0)
	v_fmac_f64_e32 v[20:21], v[10:11], v[36:37]
	v_mul_f64 v[10:11], v[182:183], v[6:7]
	v_mul_f64 v[10:11], v[178:179], v[10:11]
	v_fmac_f64_e32 v[20:21], v[10:11], v[14:15]
	ds_read2_b64 v[12:15], v127 offset0:7 offset1:8
	v_mul_f64 v[10:11], v[174:175], v[6:7]
	v_mul_f64 v[10:11], v[170:171], v[10:11]
	;; [unrolled: 1-line block ×4, first 2 shown]
	s_waitcnt lgkmcnt(0)
	v_accvgpr_write_b32 a135, v13
	v_fmac_f64_e32 v[20:21], v[10:11], v[14:15]
	v_accvgpr_write_b32 a134, v12
	ds_read_b128 v[10:13], v127 offset:64
	scratch_store_dwordx4 off, v[38:41], off offset:1192 ; 16-byte Folded Spill
	v_accvgpr_write_b32 a131, v35
	v_accvgpr_write_b32 a130, v34
	;; [unrolled: 1-line block ×3, first 2 shown]
	s_waitcnt lgkmcnt(0)
	scratch_store_dwordx4 off, v[10:13], off offset:1272 ; 16-byte Folded Spill
	v_fmac_f64_e32 v[20:21], v[6:7], v[12:13]
	ds_read2_b64 v[12:15], v127 offset0:9 offset1:10
	v_mul_f64 v[6:7], v[28:29], v[4:5]
	v_mul_f64 v[6:7], v[74:75], v[6:7]
	;; [unrolled: 1-line block ×4, first 2 shown]
	s_waitcnt lgkmcnt(0)
	scratch_store_dwordx4 off, v[12:15], off offset:1304 ; 16-byte Folded Spill
	v_fmac_f64_e32 v[20:21], v[10:11], v[14:15]
	ds_read_b128 v[12:15], v127 offset:80
	v_mul_f64 v[10:11], v[190:191], v[6:7]
	v_mul_f64 v[10:11], v[186:187], v[10:11]
	v_accvgpr_write_b32 a211, v47
	v_accvgpr_write_b32 a210, v46
	s_waitcnt lgkmcnt(0)
	scratch_store_dwordx4 off, v[12:15], off offset:1288 ; 16-byte Folded Spill
	v_fmac_f64_e32 v[20:21], v[10:11], v[14:15]
	ds_read2_b64 v[12:15], v127 offset0:11 offset1:12
	v_mul_f64 v[10:11], v[182:183], v[6:7]
	v_mul_f64 v[10:11], v[178:179], v[10:11]
	s_waitcnt lgkmcnt(0)
	v_accvgpr_write_b32 a139, v13
	v_fmac_f64_e32 v[20:21], v[10:11], v[14:15]
	v_accvgpr_write_b32 a138, v12
	ds_read_b128 v[12:15], v127 offset:96
	v_mul_f64 v[10:11], v[174:175], v[6:7]
	v_mul_f64 v[10:11], v[170:171], v[10:11]
	;; [unrolled: 1-line block ×4, first 2 shown]
	s_waitcnt lgkmcnt(0)
	scratch_store_dwordx4 off, v[12:15], off offset:1320 ; 16-byte Folded Spill
	v_fmac_f64_e32 v[20:21], v[10:11], v[14:15]
	ds_read2_b64 v[10:13], v127 offset0:13 offset1:14
	s_waitcnt lgkmcnt(0)
	v_fmac_f64_e32 v[20:21], v[6:7], v[12:13]
	ds_read_b128 v[12:15], v127 offset:112
	v_mul_f64 v[6:7], v[24:25], v[4:5]
	v_accvgpr_write_b32 a143, v11
	v_mul_f64 v[6:7], v[70:71], v[6:7]
	v_accvgpr_write_b32 a142, v10
	v_mul_f64 v[10:11], v[16:17], v[6:7]
	v_mul_f64 v[10:11], v[162:163], v[10:11]
	s_waitcnt lgkmcnt(0)
	v_accvgpr_write_b32 a147, v13
	v_fmac_f64_e32 v[20:21], v[10:11], v[14:15]
	v_accvgpr_write_b32 a146, v12
	ds_read2_b64 v[12:15], v127 offset0:15 offset1:16
	v_mul_f64 v[10:11], v[190:191], v[6:7]
	v_mul_f64 v[10:11], v[186:187], v[10:11]
	;; [unrolled: 1-line block ×4, first 2 shown]
	s_waitcnt lgkmcnt(0)
	scratch_store_dwordx4 off, v[12:15], off offset:1336 ; 16-byte Folded Spill
	v_fmac_f64_e32 v[20:21], v[10:11], v[14:15]
	ds_read_b128 v[12:15], v127 offset:128
	v_mul_f64 v[10:11], v[182:183], v[6:7]
	v_mul_f64 v[10:11], v[178:179], v[10:11]
	s_waitcnt lgkmcnt(0)
	scratch_store_dwordx4 off, v[12:15], off offset:1352 ; 16-byte Folded Spill
	v_fmac_f64_e32 v[20:21], v[10:11], v[14:15]
	ds_read2_b64 v[12:15], v127 offset0:17 offset1:18
	v_mul_f64 v[10:11], v[174:175], v[6:7]
	v_mul_f64 v[10:11], v[170:171], v[10:11]
	;; [unrolled: 1-line block ×4, first 2 shown]
	s_waitcnt lgkmcnt(0)
	scratch_store_dwordx4 off, v[12:15], off offset:1368 ; 16-byte Folded Spill
	v_fmac_f64_e32 v[20:21], v[10:11], v[14:15]
	ds_read_b128 v[10:13], v127 offset:144
	s_waitcnt lgkmcnt(0)
	scratch_store_dwordx4 off, v[10:13], off offset:1384 ; 16-byte Folded Spill
	v_fmac_f64_e32 v[20:21], v[6:7], v[12:13]
	ds_read2_b64 v[10:13], v127 offset0:19 offset1:20
	v_mul_f64 v[6:7], v[16:17], v[4:5]
	v_mul_f64 v[6:7], v[162:163], v[6:7]
	s_waitcnt lgkmcnt(0)
	scratch_store_dwordx4 off, v[10:13], off offset:1416 ; 16-byte Folded Spill
	v_fmac_f64_e32 v[20:21], v[6:7], v[12:13]
	ds_read_b128 v[10:13], v127 offset:160
	v_mul_f64 v[6:7], v[190:191], v[4:5]
	v_mul_f64 v[6:7], v[186:187], v[6:7]
	s_waitcnt lgkmcnt(0)
	v_accvgpr_write_b32 a151, v11
	v_fmac_f64_e32 v[20:21], v[6:7], v[12:13]
	v_accvgpr_write_b32 a150, v10
	ds_read2_b64 v[10:13], v127 offset0:21 offset1:22
	v_mul_f64 v[6:7], v[182:183], v[4:5]
	v_mul_f64 v[6:7], v[178:179], v[6:7]
	s_waitcnt lgkmcnt(0)
	v_accvgpr_write_b32 a155, v11
	v_fmac_f64_e32 v[20:21], v[6:7], v[12:13]
	v_accvgpr_write_b32 a154, v10
	ds_read_b128 v[10:13], v127 offset:176
	v_mul_f64 v[6:7], v[174:175], v[4:5]
	v_mul_f64 v[6:7], v[170:171], v[6:7]
	;; [unrolled: 1-line block ×4, first 2 shown]
	s_waitcnt lgkmcnt(0)
	scratch_store_dwordx4 off, v[10:13], off offset:1432 ; 16-byte Folded Spill
	v_fmac_f64_e32 v[20:21], v[6:7], v[12:13]
	ds_read2_b64 v[10:13], v127 offset0:23 offset1:24
	s_waitcnt lgkmcnt(0)
	v_accvgpr_write_b32 a159, v11
	v_fmac_f64_e32 v[20:21], v[4:5], v[12:13]
	v_accvgpr_write_b32 a158, v10
	v_mul_f64 v[4:5], v[48:49], v[8:9]
	ds_read_b128 v[10:13], v127 offset:192
	v_mul_f64 v[6:7], v[18:19], v[4:5]
	v_mul_f64 v[6:7], v[82:83], v[6:7]
	;; [unrolled: 1-line block ×4, first 2 shown]
	s_waitcnt lgkmcnt(0)
	scratch_store_dwordx4 off, v[10:13], off offset:1448 ; 16-byte Folded Spill
	v_fmac_f64_e32 v[20:21], v[12:13], v[8:9]
	ds_read2_b64 v[10:13], v127 offset0:25 offset1:26
	v_mul_f64 v[8:9], v[190:191], v[6:7]
	v_mul_f64 v[8:9], v[186:187], v[8:9]
	s_waitcnt lgkmcnt(0)
	scratch_store_dwordx4 off, v[10:13], off offset:1112 ; 16-byte Folded Spill
	v_fmac_f64_e32 v[20:21], v[12:13], v[8:9]
	ds_read_b128 v[10:13], v127 offset:208
	v_mul_f64 v[8:9], v[182:183], v[6:7]
	v_mul_f64 v[8:9], v[178:179], v[8:9]
	s_waitcnt lgkmcnt(0)
	v_accvgpr_write_b32 a119, v11
	v_fmac_f64_e32 v[20:21], v[12:13], v[8:9]
	v_accvgpr_write_b32 a118, v10
	ds_read2_b64 v[10:13], v127 offset0:27 offset1:28
	v_mul_f64 v[8:9], v[174:175], v[6:7]
	v_mul_f64 v[8:9], v[170:171], v[8:9]
	;; [unrolled: 1-line block ×4, first 2 shown]
	s_waitcnt lgkmcnt(0)
	scratch_store_dwordx4 off, v[10:13], off offset:1128 ; 16-byte Folded Spill
	v_fmac_f64_e32 v[20:21], v[12:13], v[8:9]
	ds_read_b128 v[8:11], v127 offset:224
	s_waitcnt lgkmcnt(0)
	v_fmac_f64_e32 v[20:21], v[6:7], v[10:11]
	ds_read2_b64 v[10:13], v127 offset0:29 offset1:30
	v_mul_f64 v[6:7], v[32:33], v[4:5]
	v_accvgpr_write_b32 a123, v9
	v_mul_f64 v[6:7], v[78:79], v[6:7]
	v_accvgpr_write_b32 a122, v8
	v_mul_f64 v[8:9], v[16:17], v[6:7]
	v_mul_f64 v[8:9], v[162:163], v[8:9]
	s_waitcnt lgkmcnt(0)
	scratch_store_dwordx4 off, v[10:13], off offset:1176 ; 16-byte Folded Spill
	v_fmac_f64_e32 v[20:21], v[8:9], v[12:13]
	ds_read_b128 v[10:13], v127 offset:240
	v_mul_f64 v[8:9], v[190:191], v[6:7]
	v_mul_f64 v[8:9], v[186:187], v[8:9]
	s_waitcnt lgkmcnt(0)
	scratch_store_dwordx4 off, v[10:13], off offset:1144 ; 16-byte Folded Spill
	v_fmac_f64_e32 v[20:21], v[8:9], v[12:13]
	ds_read2_b64 v[10:13], v127 offset0:31 offset1:32
	v_mul_f64 v[8:9], v[182:183], v[6:7]
	v_mul_f64 v[8:9], v[178:179], v[8:9]
	s_waitcnt lgkmcnt(0)
	v_accvgpr_write_b32 a127, v11
	v_fmac_f64_e32 v[20:21], v[8:9], v[12:13]
	v_accvgpr_write_b32 a126, v10
	ds_read2_b64 v[10:13], v127 offset0:32 offset1:33
	v_mul_f64 v[8:9], v[174:175], v[6:7]
	v_mul_f64 v[8:9], v[170:171], v[8:9]
	;; [unrolled: 1-line block ×4, first 2 shown]
	s_waitcnt lgkmcnt(0)
	scratch_store_dwordx4 off, v[10:13], off offset:1656 ; 16-byte Folded Spill
	v_fmac_f64_e32 v[20:21], v[8:9], v[12:13]
	ds_read2_b64 v[8:11], v127 offset0:33 offset1:34
	s_waitcnt lgkmcnt(0)
	scratch_store_dwordx4 off, v[8:11], off offset:1512 ; 16-byte Folded Spill
	v_fmac_f64_e32 v[20:21], v[6:7], v[10:11]
	ds_read2_b64 v[10:13], v127 offset0:34 offset1:35
	v_mul_f64 v[6:7], v[28:29], v[4:5]
	v_mul_f64 v[6:7], v[74:75], v[6:7]
	;; [unrolled: 1-line block ×4, first 2 shown]
	s_waitcnt lgkmcnt(0)
	v_accvgpr_write_b32 a39, v11
	v_fmac_f64_e32 v[20:21], v[8:9], v[12:13]
	v_accvgpr_write_b32 a38, v10
	ds_read2_b64 v[10:13], v127 offset0:35 offset1:36
	v_mul_f64 v[8:9], v[190:191], v[6:7]
	v_mul_f64 v[8:9], v[186:187], v[8:9]
	s_waitcnt lgkmcnt(0)
	scratch_store_dwordx4 off, v[10:13], off offset:1528 ; 16-byte Folded Spill
	v_fmac_f64_e32 v[20:21], v[8:9], v[12:13]
	ds_read2_b64 v[10:13], v127 offset0:36 offset1:37
	v_mul_f64 v[8:9], v[182:183], v[6:7]
	v_mul_f64 v[8:9], v[178:179], v[8:9]
	s_waitcnt lgkmcnt(0)
	scratch_store_dwordx4 off, v[10:13], off offset:1544 ; 16-byte Folded Spill
	v_fmac_f64_e32 v[20:21], v[8:9], v[12:13]
	ds_read2_b64 v[10:13], v127 offset0:37 offset1:38
	v_mul_f64 v[8:9], v[174:175], v[6:7]
	v_mul_f64 v[8:9], v[170:171], v[8:9]
	;; [unrolled: 1-line block ×4, first 2 shown]
	s_waitcnt lgkmcnt(0)
	scratch_store_dwordx4 off, v[10:13], off offset:1576 ; 16-byte Folded Spill
	v_fmac_f64_e32 v[20:21], v[8:9], v[12:13]
	ds_read2_b64 v[8:11], v127 offset0:38 offset1:39
	s_waitcnt lgkmcnt(0)
	scratch_store_dwordx4 off, v[8:11], off offset:1592 ; 16-byte Folded Spill
	v_fmac_f64_e32 v[20:21], v[6:7], v[10:11]
	ds_read2_b64 v[10:13], v127 offset0:39 offset1:40
	v_mul_f64 v[6:7], v[24:25], v[4:5]
	v_mul_f64 v[6:7], v[70:71], v[6:7]
	;; [unrolled: 1-line block ×4, first 2 shown]
	s_waitcnt lgkmcnt(0)
	scratch_store_dwordx4 off, v[10:13], off offset:1688 ; 16-byte Folded Spill
	v_fmac_f64_e32 v[20:21], v[8:9], v[12:13]
	ds_read2_b64 v[10:13], v127 offset0:40 offset1:41
	v_mul_f64 v[8:9], v[190:191], v[6:7]
	v_mul_f64 v[8:9], v[186:187], v[8:9]
	;; [unrolled: 1-line block ×4, first 2 shown]
	s_waitcnt lgkmcnt(0)
	scratch_store_dwordx4 off, v[10:13], off offset:1608 ; 16-byte Folded Spill
	v_fmac_f64_e32 v[20:21], v[8:9], v[12:13]
	ds_read2_b64 v[10:13], v127 offset0:41 offset1:42
	v_mul_f64 v[8:9], v[182:183], v[6:7]
	v_mul_f64 v[8:9], v[178:179], v[8:9]
	s_waitcnt lgkmcnt(0)
	scratch_store_dwordx4 off, v[10:13], off offset:1624 ; 16-byte Folded Spill
	v_fmac_f64_e32 v[20:21], v[8:9], v[12:13]
	ds_read2_b64 v[10:13], v127 offset0:42 offset1:43
	v_mul_f64 v[8:9], v[174:175], v[6:7]
	v_mul_f64 v[8:9], v[170:171], v[8:9]
	;; [unrolled: 1-line block ×4, first 2 shown]
	s_waitcnt lgkmcnt(0)
	scratch_store_dwordx4 off, v[10:13], off offset:1736 ; 16-byte Folded Spill
	v_fmac_f64_e32 v[20:21], v[8:9], v[12:13]
	ds_read2_b64 v[8:11], v127 offset0:43 offset1:44
	s_waitcnt lgkmcnt(0)
	scratch_store_dwordx4 off, v[8:11], off offset:1768 ; 16-byte Folded Spill
	v_fmac_f64_e32 v[20:21], v[6:7], v[10:11]
	ds_read2_b64 v[8:11], v127 offset0:44 offset1:45
	v_mul_f64 v[6:7], v[16:17], v[4:5]
	v_mul_f64 v[6:7], v[162:163], v[6:7]
	s_waitcnt lgkmcnt(0)
	v_accvgpr_write_b32 a251, v9
	v_fmac_f64_e32 v[20:21], v[6:7], v[10:11]
	v_accvgpr_write_b32 a250, v8
	ds_read2_b64 v[8:11], v127 offset0:45 offset1:46
	v_mul_f64 v[6:7], v[190:191], v[4:5]
	v_mul_f64 v[6:7], v[186:187], v[6:7]
	s_waitcnt lgkmcnt(0)
	scratch_store_dwordx4 off, v[8:11], off offset:1800 ; 16-byte Folded Spill
	v_fmac_f64_e32 v[20:21], v[6:7], v[10:11]
	ds_read2_b64 v[8:11], v127 offset0:46 offset1:47
	v_mul_f64 v[6:7], v[182:183], v[4:5]
	v_mul_f64 v[6:7], v[178:179], v[6:7]
	s_waitcnt lgkmcnt(0)
	v_accvgpr_write_b32 a249, v9
	v_fmac_f64_e32 v[20:21], v[6:7], v[10:11]
	v_accvgpr_write_b32 a248, v8
	ds_read2_b64 v[8:11], v127 offset0:47 offset1:48
	v_mul_f64 v[6:7], v[174:175], v[4:5]
	v_mul_f64 v[6:7], v[170:171], v[6:7]
	;; [unrolled: 1-line block ×4, first 2 shown]
	s_waitcnt lgkmcnt(0)
	v_accvgpr_write_b32 a245, v9
	v_fmac_f64_e32 v[20:21], v[6:7], v[10:11]
	v_accvgpr_write_b32 a244, v8
	ds_read2_b64 v[6:9], v127 offset0:48 offset1:49
	s_waitcnt lgkmcnt(0)
	v_accvgpr_write_b32 a241, v7
	v_fmac_f64_e32 v[20:21], v[4:5], v[8:9]
	v_accvgpr_write_b32 a240, v6
	ds_read_b64 v[4:5], v126 offset:64
	ds_read_b64 v[6:7], v252 offset:64
	ds_read2_b64 v[10:13], v127 offset0:49 offset1:50
	ds_read2_b64 v[148:151], v127 offset0:56 offset1:57
	s_waitcnt lgkmcnt(2)
	v_mul_f64 v[4:5], v[4:5], v[6:7]
	v_mul_f64 v[6:7], v[18:19], v[4:5]
	v_mul_f64 v[6:7], v[82:83], v[6:7]
	v_mul_f64 v[8:9], v[16:17], v[6:7]
	v_mul_f64 v[8:9], v[162:163], v[8:9]
	s_waitcnt lgkmcnt(1)
	v_accvgpr_write_b32 a225, v11
	v_fmac_f64_e32 v[20:21], v[12:13], v[8:9]
	v_accvgpr_write_b32 a224, v10
	ds_read2_b64 v[10:13], v127 offset0:50 offset1:51
	v_mul_f64 v[8:9], v[190:191], v[6:7]
	v_mul_f64 v[8:9], v[186:187], v[8:9]
	s_waitcnt lgkmcnt(1)
	v_accvgpr_write_b32 a215, v149
	v_accvgpr_write_b32 a214, v148
	s_waitcnt lgkmcnt(0)
	v_accvgpr_write_b32 a237, v11
	v_fmac_f64_e32 v[20:21], v[12:13], v[8:9]
	v_accvgpr_write_b32 a236, v10
	ds_read2_b64 v[10:13], v127 offset0:51 offset1:52
	v_mul_f64 v[8:9], v[182:183], v[6:7]
	v_mul_f64 v[8:9], v[178:179], v[8:9]
	s_waitcnt lgkmcnt(0)
	v_accvgpr_write_b32 a231, v11
	v_fmac_f64_e32 v[20:21], v[12:13], v[8:9]
	v_accvgpr_write_b32 a230, v10
	ds_read2_b64 v[10:13], v127 offset0:52 offset1:53
	v_mul_f64 v[8:9], v[174:175], v[6:7]
	v_mul_f64 v[8:9], v[170:171], v[8:9]
	v_mul_f64 v[6:7], v[2:3], v[6:7]
	v_mul_f64 v[6:7], v[166:167], v[6:7]
	s_waitcnt lgkmcnt(0)
	v_accvgpr_write_b32 a233, v11
	v_fmac_f64_e32 v[20:21], v[12:13], v[8:9]
	v_accvgpr_write_b32 a232, v10
	ds_read2_b64 v[8:11], v127 offset0:53 offset1:54
	s_waitcnt lgkmcnt(0)
	v_fmac_f64_e32 v[20:21], v[6:7], v[10:11]
	ds_read2_b64 v[10:13], v127 offset0:54 offset1:55
	v_mul_f64 v[6:7], v[32:33], v[4:5]
	v_accvgpr_write_b32 a229, v9
	v_mul_f64 v[6:7], v[78:79], v[6:7]
	v_accvgpr_write_b32 a228, v8
	v_mul_f64 v[8:9], v[16:17], v[6:7]
	v_mul_f64 v[8:9], v[162:163], v[8:9]
	s_waitcnt lgkmcnt(0)
	v_accvgpr_write_b32 a221, v11
	v_fmac_f64_e32 v[20:21], v[8:9], v[12:13]
	v_accvgpr_write_b32 a220, v10
	ds_read2_b64 v[10:13], v127 offset0:55 offset1:56
	v_mul_f64 v[8:9], v[190:191], v[6:7]
	v_mul_f64 v[8:9], v[186:187], v[8:9]
	s_waitcnt lgkmcnt(0)
	v_accvgpr_write_b32 a51, v11
	v_fmac_f64_e32 v[20:21], v[8:9], v[12:13]
	v_accvgpr_write_b32 a50, v10
	ds_read2_b64 v[10:13], v127 offset0:57 offset1:58
	v_mul_f64 v[8:9], v[182:183], v[6:7]
	v_mul_f64 v[8:9], v[178:179], v[8:9]
	v_fmac_f64_e32 v[20:21], v[8:9], v[150:151]
	v_mul_f64 v[8:9], v[174:175], v[6:7]
	v_mul_f64 v[8:9], v[170:171], v[8:9]
	s_waitcnt lgkmcnt(0)
	v_accvgpr_write_b32 a217, v11
	v_fmac_f64_e32 v[20:21], v[8:9], v[12:13]
	v_accvgpr_write_b32 a216, v10
	ds_read2_b64 v[8:11], v127 offset0:58 offset1:59
	v_mul_f64 v[6:7], v[2:3], v[6:7]
	v_mul_f64 v[6:7], v[166:167], v[6:7]
	ds_read2_b64 v[148:151], v127 offset0:61 offset1:62
	s_waitcnt lgkmcnt(1)
	v_fmac_f64_e32 v[20:21], v[6:7], v[10:11]
	ds_read2_b64 v[10:13], v127 offset0:59 offset1:60
	v_mul_f64 v[6:7], v[28:29], v[4:5]
	v_accvgpr_write_b32 a213, v9
	v_mul_f64 v[6:7], v[74:75], v[6:7]
	v_accvgpr_write_b32 a212, v8
	v_mul_f64 v[8:9], v[16:17], v[6:7]
	v_mul_f64 v[8:9], v[162:163], v[8:9]
	s_waitcnt lgkmcnt(0)
	v_accvgpr_write_b32 a205, v11
	v_fmac_f64_e32 v[20:21], v[8:9], v[12:13]
	v_accvgpr_write_b32 a204, v10
	ds_read2_b64 v[10:13], v127 offset0:60 offset1:61
	v_mul_f64 v[8:9], v[190:191], v[6:7]
	v_mul_f64 v[8:9], v[186:187], v[8:9]
	v_accvgpr_write_b32 a203, v149
	v_accvgpr_write_b32 a202, v148
	s_waitcnt lgkmcnt(0)
	v_accvgpr_write_b32 a209, v11
	v_fmac_f64_e32 v[20:21], v[8:9], v[12:13]
	v_accvgpr_write_b32 a208, v10
	ds_read2_b64 v[10:13], v127 offset0:62 offset1:63
	v_mul_f64 v[8:9], v[182:183], v[6:7]
	v_mul_f64 v[8:9], v[178:179], v[8:9]
	v_fmac_f64_e32 v[20:21], v[8:9], v[150:151]
	v_mul_f64 v[8:9], v[174:175], v[6:7]
	v_mul_f64 v[8:9], v[170:171], v[8:9]
	s_waitcnt lgkmcnt(0)
	v_accvgpr_write_b32 a191, v11
	v_fmac_f64_e32 v[20:21], v[8:9], v[12:13]
	v_accvgpr_write_b32 a190, v10
	ds_read2_b64 v[8:11], v127 offset0:63 offset1:64
	v_mul_f64 v[6:7], v[2:3], v[6:7]
	v_mul_f64 v[6:7], v[166:167], v[6:7]
	s_waitcnt lgkmcnt(0)
	v_fmac_f64_e32 v[20:21], v[6:7], v[10:11]
	ds_read2_b64 v[10:13], v127 offset0:64 offset1:65
	v_mul_f64 v[6:7], v[24:25], v[4:5]
	v_accvgpr_write_b32 a201, v9
	v_mul_f64 v[6:7], v[70:71], v[6:7]
	v_accvgpr_write_b32 a200, v8
	v_mul_f64 v[8:9], v[16:17], v[6:7]
	v_mul_f64 v[8:9], v[162:163], v[8:9]
	s_waitcnt lgkmcnt(0)
	v_accvgpr_write_b32 a35, v11
	v_fmac_f64_e32 v[20:21], v[8:9], v[12:13]
	v_accvgpr_write_b32 a34, v10
	ds_read2_b64 v[10:13], v127 offset0:65 offset1:66
	v_mul_f64 v[8:9], v[190:191], v[6:7]
	v_mul_f64 v[8:9], v[186:187], v[8:9]
	;; [unrolled: 1-line block ×4, first 2 shown]
	s_waitcnt lgkmcnt(0)
	v_accvgpr_write_b32 a197, v11
	v_fmac_f64_e32 v[20:21], v[8:9], v[12:13]
	v_accvgpr_write_b32 a196, v10
	ds_read2_b64 v[10:13], v127 offset0:66 offset1:67
	v_mul_f64 v[8:9], v[182:183], v[6:7]
	v_mul_f64 v[8:9], v[178:179], v[8:9]
	s_waitcnt lgkmcnt(0)
	v_accvgpr_write_b32 a193, v11
	v_fmac_f64_e32 v[20:21], v[8:9], v[12:13]
	v_accvgpr_write_b32 a192, v10
	ds_read2_b64 v[10:13], v127 offset0:67 offset1:68
	v_mul_f64 v[8:9], v[174:175], v[6:7]
	v_mul_f64 v[8:9], v[170:171], v[8:9]
	;; [unrolled: 1-line block ×4, first 2 shown]
	s_waitcnt lgkmcnt(0)
	v_accvgpr_write_b32 a189, v11
	v_fmac_f64_e32 v[20:21], v[8:9], v[12:13]
	v_accvgpr_write_b32 a188, v10
	ds_read2_b64 v[8:11], v127 offset0:68 offset1:69
	s_waitcnt lgkmcnt(0)
	v_accvgpr_write_b32 a185, v9
	v_fmac_f64_e32 v[20:21], v[6:7], v[10:11]
	v_accvgpr_write_b32 a184, v8
	ds_read2_b64 v[8:11], v127 offset0:69 offset1:70
	v_mul_f64 v[6:7], v[16:17], v[4:5]
	v_mul_f64 v[6:7], v[162:163], v[6:7]
	s_waitcnt lgkmcnt(0)
	v_accvgpr_write_b32 a31, v9
	v_fmac_f64_e32 v[20:21], v[6:7], v[10:11]
	v_accvgpr_write_b32 a30, v8
	ds_read2_b64 v[8:11], v127 offset0:70 offset1:71
	v_mul_f64 v[6:7], v[190:191], v[4:5]
	v_mul_f64 v[6:7], v[186:187], v[6:7]
	;; [unrolled: 7-line block ×4, first 2 shown]
	v_mul_f64 v[4:5], v[2:3], v[4:5]
	v_mul_f64 v[4:5], v[166:167], v[4:5]
	s_waitcnt lgkmcnt(0)
	v_accvgpr_write_b32 a173, v9
	v_fmac_f64_e32 v[20:21], v[6:7], v[10:11]
	v_accvgpr_write_b32 a172, v8
	ds_read2_b64 v[6:9], v127 offset0:73 offset1:74
	s_waitcnt lgkmcnt(0)
	v_accvgpr_write_b32 a169, v7
	v_fmac_f64_e32 v[20:21], v[4:5], v[8:9]
	v_accvgpr_write_b32 a168, v6
	ds_read_b64 v[4:5], v126 offset:96
	ds_read_b64 v[6:7], v252 offset:96
	ds_read2_b64 v[10:13], v127 offset0:74 offset1:75
	scratch_store_dwordx4 off, v[26:29], off offset:1720 ; 16-byte Folded Spill
	scratch_store_dwordx4 off, v[22:25], off offset:1640 ; 16-byte Folded Spill
	s_waitcnt lgkmcnt(1)
	v_mul_f64 v[4:5], v[4:5], v[6:7]
	v_mul_f64 v[6:7], v[18:19], v[4:5]
	;; [unrolled: 1-line block ×5, first 2 shown]
	s_waitcnt lgkmcnt(0)
	v_accvgpr_write_b32 a149, v11
	v_fmac_f64_e32 v[20:21], v[12:13], v[8:9]
	v_accvgpr_write_b32 a148, v10
	ds_read2_b64 v[10:13], v127 offset0:75 offset1:76
	v_mul_f64 v[8:9], v[190:191], v[6:7]
	v_mul_f64 v[8:9], v[186:187], v[8:9]
	s_waitcnt lgkmcnt(0)
	v_accvgpr_write_b32 a165, v11
	v_fmac_f64_e32 v[20:21], v[12:13], v[8:9]
	v_accvgpr_write_b32 a164, v10
	ds_read2_b64 v[10:13], v127 offset0:76 offset1:77
	v_mul_f64 v[8:9], v[182:183], v[6:7]
	v_mul_f64 v[8:9], v[178:179], v[8:9]
	s_waitcnt lgkmcnt(0)
	v_accvgpr_write_b32 a161, v11
	v_fmac_f64_e32 v[20:21], v[12:13], v[8:9]
	v_accvgpr_write_b32 a160, v10
	ds_read2_b64 v[10:13], v127 offset0:77 offset1:78
	v_mul_f64 v[8:9], v[174:175], v[6:7]
	v_mul_f64 v[8:9], v[170:171], v[8:9]
	v_mul_f64 v[6:7], v[2:3], v[6:7]
	v_mul_f64 v[6:7], v[166:167], v[6:7]
	s_waitcnt lgkmcnt(0)
	v_accvgpr_write_b32 a157, v11
	v_fmac_f64_e32 v[20:21], v[12:13], v[8:9]
	v_accvgpr_write_b32 a156, v10
	ds_read2_b64 v[8:11], v127 offset0:78 offset1:79
	s_waitcnt lgkmcnt(0)
	v_fmac_f64_e32 v[20:21], v[6:7], v[10:11]
	ds_read2_b64 v[10:13], v127 offset0:79 offset1:80
	v_mul_f64 v[6:7], v[32:33], v[4:5]
	v_accvgpr_write_b32 a153, v9
	v_mul_f64 v[6:7], v[78:79], v[6:7]
	v_accvgpr_write_b32 a152, v8
	v_mul_f64 v[8:9], v[16:17], v[6:7]
	v_mul_f64 v[8:9], v[162:163], v[8:9]
	s_waitcnt lgkmcnt(0)
	v_accvgpr_write_b32 a27, v11
	v_fmac_f64_e32 v[20:21], v[8:9], v[12:13]
	v_accvgpr_write_b32 a26, v10
	ds_read2_b64 v[10:13], v127 offset0:80 offset1:81
	v_mul_f64 v[8:9], v[190:191], v[6:7]
	v_mul_f64 v[8:9], v[186:187], v[8:9]
	s_waitcnt lgkmcnt(0)
	v_accvgpr_write_b32 a145, v11
	v_fmac_f64_e32 v[20:21], v[8:9], v[12:13]
	v_accvgpr_write_b32 a144, v10
	ds_read2_b64 v[10:13], v127 offset0:81 offset1:82
	v_mul_f64 v[8:9], v[182:183], v[6:7]
	v_mul_f64 v[8:9], v[178:179], v[8:9]
	s_waitcnt lgkmcnt(0)
	v_accvgpr_write_b32 a141, v11
	v_fmac_f64_e32 v[20:21], v[8:9], v[12:13]
	v_accvgpr_write_b32 a140, v10
	ds_read2_b64 v[10:13], v127 offset0:82 offset1:83
	v_mul_f64 v[8:9], v[174:175], v[6:7]
	v_mul_f64 v[8:9], v[170:171], v[8:9]
	v_mul_f64 v[6:7], v[2:3], v[6:7]
	v_mul_f64 v[6:7], v[166:167], v[6:7]
	s_waitcnt lgkmcnt(0)
	v_accvgpr_write_b32 a137, v11
	v_fmac_f64_e32 v[20:21], v[8:9], v[12:13]
	v_accvgpr_write_b32 a136, v10
	ds_read2_b64 v[8:11], v127 offset0:83 offset1:84
	s_waitcnt lgkmcnt(0)
	v_fmac_f64_e32 v[20:21], v[6:7], v[10:11]
	ds_read2_b64 v[10:13], v127 offset0:84 offset1:85
	v_mul_f64 v[6:7], v[28:29], v[4:5]
	v_accvgpr_write_b32 a133, v9
	v_mul_f64 v[6:7], v[74:75], v[6:7]
	v_accvgpr_write_b32 a132, v8
	v_mul_f64 v[8:9], v[16:17], v[6:7]
	v_mul_f64 v[8:9], v[162:163], v[8:9]
	;; [unrolled: 37-line block ×3, first 2 shown]
	s_waitcnt lgkmcnt(0)
	v_accvgpr_write_b32 a19, v11
	v_fmac_f64_e32 v[20:21], v[8:9], v[12:13]
	v_accvgpr_write_b32 a18, v10
	ds_read2_b64 v[10:13], v127 offset0:90 offset1:91
	v_mul_f64 v[8:9], v[190:191], v[6:7]
	v_mul_f64 v[8:9], v[186:187], v[8:9]
	;; [unrolled: 1-line block ×4, first 2 shown]
	s_waitcnt lgkmcnt(0)
	v_accvgpr_write_b32 a113, v11
	v_fmac_f64_e32 v[20:21], v[8:9], v[12:13]
	v_accvgpr_write_b32 a112, v10
	ds_read2_b64 v[10:13], v127 offset0:91 offset1:92
	v_mul_f64 v[8:9], v[182:183], v[6:7]
	v_mul_f64 v[8:9], v[178:179], v[8:9]
	s_waitcnt lgkmcnt(0)
	v_accvgpr_write_b32 a109, v11
	v_fmac_f64_e32 v[20:21], v[8:9], v[12:13]
	v_accvgpr_write_b32 a108, v10
	ds_read2_b64 v[10:13], v127 offset0:92 offset1:93
	v_mul_f64 v[8:9], v[174:175], v[6:7]
	v_mul_f64 v[8:9], v[170:171], v[8:9]
	;; [unrolled: 1-line block ×4, first 2 shown]
	s_waitcnt lgkmcnt(0)
	v_accvgpr_write_b32 a105, v11
	v_fmac_f64_e32 v[20:21], v[8:9], v[12:13]
	v_accvgpr_write_b32 a104, v10
	ds_read2_b64 v[8:11], v127 offset0:93 offset1:94
	s_waitcnt lgkmcnt(0)
	v_accvgpr_write_b32 a101, v9
	v_fmac_f64_e32 v[20:21], v[6:7], v[10:11]
	v_accvgpr_write_b32 a100, v8
	ds_read2_b64 v[8:11], v127 offset0:94 offset1:95
	v_mul_f64 v[6:7], v[16:17], v[4:5]
	v_mul_f64 v[6:7], v[162:163], v[6:7]
	s_waitcnt lgkmcnt(0)
	v_accvgpr_write_b32 a15, v9
	v_fmac_f64_e32 v[20:21], v[6:7], v[10:11]
	v_accvgpr_write_b32 a14, v8
	ds_read2_b64 v[8:11], v127 offset0:95 offset1:96
	v_mul_f64 v[6:7], v[190:191], v[4:5]
	v_mul_f64 v[6:7], v[186:187], v[6:7]
	;; [unrolled: 7-line block ×4, first 2 shown]
	v_mul_f64 v[4:5], v[2:3], v[4:5]
	v_mul_f64 v[4:5], v[166:167], v[4:5]
	s_waitcnt lgkmcnt(0)
	v_accvgpr_write_b32 a89, v9
	v_fmac_f64_e32 v[20:21], v[6:7], v[10:11]
	v_accvgpr_write_b32 a88, v8
	ds_read2_b64 v[6:9], v127 offset0:98 offset1:99
	s_waitcnt lgkmcnt(0)
	v_accvgpr_write_b32 a85, v7
	v_fmac_f64_e32 v[20:21], v[4:5], v[8:9]
	v_accvgpr_write_b32 a84, v6
	ds_read_b64 v[4:5], v126 offset:128
	ds_read_b64 v[6:7], v252 offset:128
	ds_read2_b64 v[10:13], v127 offset0:99 offset1:100
	s_waitcnt lgkmcnt(1)
	v_mul_f64 v[4:5], v[4:5], v[6:7]
	v_mul_f64 v[6:7], v[18:19], v[4:5]
	;; [unrolled: 1-line block ×5, first 2 shown]
	s_waitcnt lgkmcnt(0)
	v_accvgpr_write_b32 a65, v11
	v_fmac_f64_e32 v[20:21], v[12:13], v[8:9]
	v_accvgpr_write_b32 a64, v10
	ds_read2_b64 v[10:13], v127 offset0:100 offset1:101
	v_mul_f64 v[8:9], v[190:191], v[6:7]
	v_mul_f64 v[8:9], v[186:187], v[8:9]
	s_waitcnt lgkmcnt(0)
	v_accvgpr_write_b32 a81, v11
	v_fmac_f64_e32 v[20:21], v[12:13], v[8:9]
	v_accvgpr_write_b32 a80, v10
	ds_read2_b64 v[10:13], v127 offset0:101 offset1:102
	v_mul_f64 v[8:9], v[182:183], v[6:7]
	v_mul_f64 v[8:9], v[178:179], v[8:9]
	s_waitcnt lgkmcnt(0)
	v_accvgpr_write_b32 a77, v11
	v_fmac_f64_e32 v[20:21], v[12:13], v[8:9]
	v_accvgpr_write_b32 a76, v10
	ds_read2_b64 v[10:13], v127 offset0:102 offset1:103
	v_mul_f64 v[8:9], v[174:175], v[6:7]
	v_mul_f64 v[8:9], v[170:171], v[8:9]
	v_mul_f64 v[6:7], v[2:3], v[6:7]
	v_mul_f64 v[6:7], v[166:167], v[6:7]
	s_waitcnt lgkmcnt(0)
	v_accvgpr_write_b32 a73, v11
	v_fmac_f64_e32 v[20:21], v[12:13], v[8:9]
	v_accvgpr_write_b32 a72, v10
	ds_read2_b64 v[8:11], v127 offset0:103 offset1:104
	s_waitcnt lgkmcnt(0)
	v_fmac_f64_e32 v[20:21], v[6:7], v[10:11]
	ds_read2_b64 v[10:13], v127 offset0:104 offset1:105
	v_mul_f64 v[6:7], v[32:33], v[4:5]
	v_accvgpr_write_b32 a69, v9
	v_mul_f64 v[6:7], v[78:79], v[6:7]
	v_accvgpr_write_b32 a68, v8
	v_mul_f64 v[8:9], v[16:17], v[6:7]
	v_mul_f64 v[8:9], v[162:163], v[8:9]
	s_waitcnt lgkmcnt(0)
	v_accvgpr_write_b32 a10, v10
	v_fmac_f64_e32 v[20:21], v[8:9], v[12:13]
	v_accvgpr_write_b32 a11, v11
	ds_read2_b64 v[10:13], v127 offset0:105 offset1:106
	v_mul_f64 v[8:9], v[190:191], v[6:7]
	v_mul_f64 v[8:9], v[186:187], v[8:9]
	s_waitcnt lgkmcnt(0)
	v_accvgpr_write_b32 a61, v11
	v_fmac_f64_e32 v[20:21], v[8:9], v[12:13]
	v_accvgpr_write_b32 a60, v10
	ds_read2_b64 v[10:13], v127 offset0:106 offset1:107
	v_mul_f64 v[8:9], v[182:183], v[6:7]
	v_mul_f64 v[8:9], v[178:179], v[8:9]
	s_waitcnt lgkmcnt(0)
	v_accvgpr_write_b32 a57, v11
	v_fmac_f64_e32 v[20:21], v[8:9], v[12:13]
	v_accvgpr_write_b32 a56, v10
	ds_read2_b64 v[10:13], v127 offset0:107 offset1:108
	v_mul_f64 v[8:9], v[174:175], v[6:7]
	v_mul_f64 v[8:9], v[170:171], v[8:9]
	v_mul_f64 v[6:7], v[2:3], v[6:7]
	v_mul_f64 v[6:7], v[166:167], v[6:7]
	s_waitcnt lgkmcnt(0)
	v_accvgpr_write_b32 a53, v11
	v_fmac_f64_e32 v[20:21], v[8:9], v[12:13]
	v_accvgpr_write_b32 a52, v10
	ds_read2_b64 v[8:11], v127 offset0:108 offset1:109
	s_waitcnt lgkmcnt(0)
	v_fmac_f64_e32 v[20:21], v[6:7], v[10:11]
	ds_read2_b64 v[10:13], v127 offset0:109 offset1:110
	v_mul_f64 v[6:7], v[28:29], v[4:5]
	v_accvgpr_write_b32 a49, v9
	v_mul_f64 v[6:7], v[74:75], v[6:7]
	v_accvgpr_write_b32 a48, v8
	v_mul_f64 v[8:9], v[16:17], v[6:7]
	v_mul_f64 v[8:9], v[162:163], v[8:9]
	s_waitcnt lgkmcnt(0)
	v_accvgpr_write_b32 a6, v10
	v_fmac_f64_e32 v[20:21], v[8:9], v[12:13]
	v_accvgpr_write_b32 a7, v11
	ds_read2_b64 v[10:13], v127 offset0:110 offset1:111
	v_mul_f64 v[8:9], v[190:191], v[6:7]
	v_mul_f64 v[8:9], v[186:187], v[8:9]
	s_waitcnt lgkmcnt(0)
	v_accvgpr_write_b32 a45, v11
	v_fmac_f64_e32 v[20:21], v[8:9], v[12:13]
	v_accvgpr_write_b32 a44, v10
	ds_read2_b64 v[10:13], v127 offset0:111 offset1:112
	v_mul_f64 v[8:9], v[182:183], v[6:7]
	v_mul_f64 v[8:9], v[178:179], v[8:9]
	s_waitcnt lgkmcnt(0)
	v_accvgpr_write_b32 a41, v11
	v_fmac_f64_e32 v[20:21], v[8:9], v[12:13]
	v_accvgpr_write_b32 a40, v10
	ds_read2_b64 v[10:13], v127 offset0:112 offset1:113
	v_mul_f64 v[8:9], v[174:175], v[6:7]
	v_mul_f64 v[8:9], v[170:171], v[8:9]
	v_mul_f64 v[6:7], v[2:3], v[6:7]
	v_mul_f64 v[6:7], v[166:167], v[6:7]
	s_waitcnt lgkmcnt(0)
	v_accvgpr_write_b32 a37, v11
	v_fmac_f64_e32 v[20:21], v[8:9], v[12:13]
	v_accvgpr_write_b32 a36, v10
	ds_read2_b64 v[8:11], v127 offset0:113 offset1:114
	s_waitcnt lgkmcnt(0)
	v_fmac_f64_e32 v[20:21], v[6:7], v[10:11]
	ds_read2_b64 v[10:13], v127 offset0:114 offset1:115
	v_mul_f64 v[6:7], v[24:25], v[4:5]
	v_accvgpr_write_b32 a33, v9
	v_mul_f64 v[6:7], v[70:71], v[6:7]
	v_accvgpr_write_b32 a32, v8
	v_mul_f64 v[8:9], v[16:17], v[6:7]
	v_mul_f64 v[8:9], v[162:163], v[8:9]
	s_waitcnt lgkmcnt(0)
	v_accvgpr_write_b32 a2, v10
	v_fmac_f64_e32 v[20:21], v[8:9], v[12:13]
	v_accvgpr_write_b32 a3, v11
	ds_read2_b64 v[10:13], v127 offset0:115 offset1:116
	v_mul_f64 v[8:9], v[190:191], v[6:7]
	v_mul_f64 v[8:9], v[186:187], v[8:9]
	;; [unrolled: 1-line block ×4, first 2 shown]
	s_waitcnt lgkmcnt(0)
	v_accvgpr_write_b32 a29, v11
	v_fmac_f64_e32 v[20:21], v[8:9], v[12:13]
	v_accvgpr_write_b32 a28, v10
	ds_read2_b64 v[10:13], v127 offset0:116 offset1:117
	v_mul_f64 v[8:9], v[182:183], v[6:7]
	v_mul_f64 v[8:9], v[178:179], v[8:9]
	s_waitcnt lgkmcnt(0)
	v_accvgpr_write_b32 a25, v11
	v_fmac_f64_e32 v[20:21], v[8:9], v[12:13]
	v_accvgpr_write_b32 a24, v10
	ds_read2_b64 v[10:13], v127 offset0:117 offset1:118
	v_mul_f64 v[8:9], v[174:175], v[6:7]
	v_mul_f64 v[8:9], v[170:171], v[8:9]
	;; [unrolled: 1-line block ×4, first 2 shown]
	s_waitcnt lgkmcnt(0)
	v_accvgpr_write_b32 a21, v11
	v_fmac_f64_e32 v[20:21], v[8:9], v[12:13]
	v_accvgpr_write_b32 a20, v10
	ds_read2_b64 v[8:11], v127 offset0:118 offset1:119
	v_mul_f64 v[2:3], v[2:3], v[4:5]
	v_mul_f64 v[2:3], v[166:167], v[2:3]
	s_waitcnt lgkmcnt(0)
	v_accvgpr_write_b32 a17, v9
	v_fmac_f64_e32 v[20:21], v[6:7], v[10:11]
	v_accvgpr_write_b32 a16, v8
	ds_read2_b64 v[8:11], v127 offset0:119 offset1:120
	v_mul_f64 v[6:7], v[16:17], v[4:5]
	v_mul_f64 v[6:7], v[162:163], v[6:7]
	;; [unrolled: 7-line block ×3, first 2 shown]
	s_waitcnt lgkmcnt(0)
	v_fmac_f64_e32 v[20:21], v[6:7], v[10:11]
	v_mov_b64_e32 v[186:187], v[8:9]
	ds_read2_b64 v[8:11], v127 offset0:121 offset1:122
	v_mul_f64 v[6:7], v[182:183], v[4:5]
	v_mul_f64 v[6:7], v[178:179], v[6:7]
	s_waitcnt lgkmcnt(0)
	v_fmac_f64_e32 v[20:21], v[6:7], v[10:11]
	v_mov_b64_e32 v[178:179], v[8:9]
	ds_read2_b64 v[8:11], v127 offset0:122 offset1:123
	v_mul_f64 v[6:7], v[174:175], v[4:5]
	v_mul_f64 v[6:7], v[170:171], v[6:7]
	s_waitcnt lgkmcnt(0)
	v_fmac_f64_e32 v[20:21], v[6:7], v[10:11]
	ds_read2_b64 v[4:7], v127 offset0:123 offset1:124
	v_mov_b64_e32 v[170:171], v[8:9]
	s_waitcnt lgkmcnt(0)
	v_fmac_f64_e32 v[20:21], v[2:3], v[6:7]
	global_store_dwordx2 v[60:61], v[20:21], off offset:2048
	v_mov_b64_e32 v[174:175], v[4:5]
	ds_read_b64 v[116:117], v125
	ds_read2_b64 v[210:213], v127 offset0:126 offset1:127
	ds_read_b64 v[112:113], v125 offset:32
	ds_read_b64 v[114:115], v127 offset:1048
	;; [unrolled: 1-line block ×8, first 2 shown]
	ds_read_b64 v[166:167], v124
	ds_read_b64 v[162:163], v124 offset:32
	ds_read_b64 v[122:123], v124 offset:64
	;; [unrolled: 1-line block ×4, first 2 shown]
	ds_read_b64 v[2:3], v126
	ds_read_b64 v[4:5], v126 offset:32
	ds_read_b64 v[6:7], v252
	ds_read_b64 v[8:9], v252 offset:32
	ds_read_b64 v[12:13], v127
	ds_read2_b64 v[38:41], v127 offset1:1
	ds_read2_b64 v[34:37], v127 offset0:1 offset1:2
	ds_read2_b64 v[30:33], v127 offset0:2 offset1:3
	;; [unrolled: 1-line block ×8, first 2 shown]
	s_waitcnt lgkmcnt(11)
	v_mul_f64 v[2:3], v[2:3], v[6:7]
	v_mul_f64 v[6:7], v[166:167], v[2:3]
	;; [unrolled: 1-line block ×5, first 2 shown]
	s_waitcnt lgkmcnt(9)
	v_fma_f64 v[96:97], v[12:13], v[10:11], 0
	v_mul_f64 v[10:11], v[112:113], v[6:7]
	v_mul_f64 v[10:11], v[114:115], v[10:11]
	s_waitcnt lgkmcnt(8)
	v_fmac_f64_e32 v[96:97], v[40:41], v[10:11]
	v_mul_f64 v[10:11], v[104:105], v[6:7]
	v_mul_f64 v[10:11], v[106:107], v[10:11]
	s_waitcnt lgkmcnt(7)
	v_fmac_f64_e32 v[96:97], v[36:37], v[10:11]
	v_mul_f64 v[10:11], v[74:75], v[6:7]
	v_mul_f64 v[10:11], v[78:79], v[10:11]
	;; [unrolled: 1-line block ×3, first 2 shown]
	s_waitcnt lgkmcnt(6)
	v_fmac_f64_e32 v[96:97], v[32:33], v[10:11]
	v_mul_f64 v[6:7], v[70:71], v[6:7]
	s_waitcnt lgkmcnt(5)
	v_fmac_f64_e32 v[96:97], v[6:7], v[28:29]
	v_mul_f64 v[6:7], v[162:163], v[2:3]
	v_mul_f64 v[6:7], v[114:115], v[6:7]
	;; [unrolled: 1-line block ×4, first 2 shown]
	s_waitcnt lgkmcnt(4)
	v_fmac_f64_e32 v[96:97], v[10:11], v[24:25]
	v_mul_f64 v[10:11], v[112:113], v[6:7]
	v_mul_f64 v[10:11], v[114:115], v[10:11]
	s_waitcnt lgkmcnt(2)
	v_mov_b64_e32 v[182:183], v[14:15]
	ds_read2_b64 v[12:15], v127 offset0:7 offset1:8
	v_fmac_f64_e32 v[96:97], v[10:11], v[20:21]
	v_mul_f64 v[10:11], v[104:105], v[6:7]
	v_mul_f64 v[10:11], v[106:107], v[10:11]
	v_fmac_f64_e32 v[96:97], v[10:11], v[16:17]
	v_mul_f64 v[10:11], v[74:75], v[6:7]
	v_mul_f64 v[10:11], v[78:79], v[10:11]
	s_waitcnt lgkmcnt(0)
	v_fmac_f64_e32 v[96:97], v[10:11], v[14:15]
	v_mov_b64_e32 v[148:149], v[12:13]
	ds_read2_b64 v[10:13], v127 offset0:8 offset1:9
	v_mul_f64 v[6:7], v[66:67], v[6:7]
	v_mul_f64 v[6:7], v[70:71], v[6:7]
	ds_read2_b64 v[90:93], v127 offset0:16 offset1:17
	ds_read2_b64 v[86:89], v127 offset0:17 offset1:18
	s_waitcnt lgkmcnt(2)
	v_fmac_f64_e32 v[96:97], v[6:7], v[12:13]
	ds_read2_b64 v[12:15], v127 offset0:9 offset1:10
	v_mul_f64 v[6:7], v[122:123], v[2:3]
	v_accvgpr_write_b32 a4, v10
	v_mul_f64 v[6:7], v[106:107], v[6:7]
	v_accvgpr_write_b32 a5, v11
	v_mul_f64 v[10:11], v[116:117], v[6:7]
	v_mul_f64 v[10:11], v[212:213], v[10:11]
	s_waitcnt lgkmcnt(0)
	v_fmac_f64_e32 v[96:97], v[10:11], v[14:15]
	v_mov_b64_e32 v[140:141], v[12:13]
	ds_read2_b64 v[12:15], v127 offset0:11 offset1:12
	v_mul_f64 v[10:11], v[112:113], v[6:7]
	v_mul_f64 v[10:11], v[114:115], v[10:11]
	v_fmac_f64_e32 v[96:97], v[10:11], v[110:111]
	v_mul_f64 v[10:11], v[104:105], v[6:7]
	v_mul_f64 v[10:11], v[106:107], v[10:11]
	s_waitcnt lgkmcnt(0)
	v_accvgpr_write_b32 a0, v12
	v_fmac_f64_e32 v[96:97], v[10:11], v[14:15]
	v_accvgpr_write_b32 a1, v13
	ds_read2_b64 v[12:15], v127 offset0:12 offset1:13
	v_mul_f64 v[10:11], v[74:75], v[6:7]
	v_mul_f64 v[10:11], v[78:79], v[10:11]
	;; [unrolled: 1-line block ×4, first 2 shown]
	s_waitcnt lgkmcnt(0)
	v_fmac_f64_e32 v[96:97], v[10:11], v[14:15]
	v_mov_b64_e32 v[146:147], v[12:13]
	ds_read2_b64 v[10:13], v127 offset0:13 offset1:14
	ds_read2_b64 v[82:85], v127 offset0:18 offset1:19
	;; [unrolled: 1-line block ×5, first 2 shown]
	s_waitcnt lgkmcnt(4)
	v_fmac_f64_e32 v[96:97], v[6:7], v[12:13]
	ds_read2_b64 v[12:15], v127 offset0:14 offset1:15
	v_mul_f64 v[6:7], v[120:121], v[2:3]
	v_mul_f64 v[6:7], v[78:79], v[6:7]
	v_mov_b64_e32 v[142:143], v[10:11]
	v_mul_f64 v[10:11], v[116:117], v[6:7]
	v_mul_f64 v[10:11], v[212:213], v[10:11]
	s_waitcnt lgkmcnt(0)
	v_fmac_f64_e32 v[96:97], v[10:11], v[14:15]
	v_mul_f64 v[10:11], v[112:113], v[6:7]
	v_mul_f64 v[10:11], v[114:115], v[10:11]
	v_fmac_f64_e32 v[96:97], v[10:11], v[136:137]
	v_mul_f64 v[10:11], v[104:105], v[6:7]
	v_mul_f64 v[10:11], v[106:107], v[10:11]
	;; [unrolled: 3-line block ×3, first 2 shown]
	v_mul_f64 v[6:7], v[66:67], v[6:7]
	v_mul_f64 v[2:3], v[118:119], v[2:3]
	v_fmac_f64_e32 v[96:97], v[10:11], v[88:89]
	v_mul_f64 v[6:7], v[70:71], v[6:7]
	v_mul_f64 v[2:3], v[70:71], v[2:3]
	v_fmac_f64_e32 v[96:97], v[6:7], v[84:85]
	;; [unrolled: 3-line block ×3, first 2 shown]
	v_mul_f64 v[6:7], v[112:113], v[2:3]
	v_mul_f64 v[6:7], v[114:115], v[6:7]
	ds_read2_b64 v[46:49], v127 offset0:22 offset1:23
	ds_read2_b64 v[42:45], v127 offset0:23 offset1:24
	v_fmac_f64_e32 v[96:97], v[6:7], v[56:57]
	v_mul_f64 v[6:7], v[104:105], v[2:3]
	v_mul_f64 v[6:7], v[106:107], v[6:7]
	v_fmac_f64_e32 v[96:97], v[6:7], v[52:53]
	v_mul_f64 v[6:7], v[74:75], v[2:3]
	v_mul_f64 v[6:7], v[78:79], v[6:7]
	;; [unrolled: 1-line block ×3, first 2 shown]
	s_waitcnt lgkmcnt(1)
	v_fmac_f64_e32 v[96:97], v[6:7], v[48:49]
	v_mul_f64 v[2:3], v[70:71], v[2:3]
	v_mul_f64 v[6:7], v[4:5], v[8:9]
	ds_read2_b64 v[214:217], v127 offset0:24 offset1:25
	ds_read2_b64 v[130:133], v127 offset0:29 offset1:30
	s_waitcnt lgkmcnt(2)
	v_fmac_f64_e32 v[96:97], v[2:3], v[44:45]
	v_mul_f64 v[2:3], v[166:167], v[6:7]
	v_mov_b64_e32 v[150:151], v[38:39]
	v_mul_f64 v[8:9], v[212:213], v[2:3]
	ds_read2_b64 v[38:41], v127 offset0:25 offset1:26
	v_mul_f64 v[2:3], v[116:117], v[8:9]
	v_mov_b64_e32 v[156:157], v[34:35]
	v_mul_f64 v[2:3], v[212:213], v[2:3]
	ds_read2_b64 v[34:37], v127 offset0:26 offset1:27
	s_waitcnt lgkmcnt(3)
	v_fmac_f64_e32 v[96:97], v[216:217], v[2:3]
	v_mul_f64 v[2:3], v[112:113], v[8:9]
	v_mul_f64 v[2:3], v[114:115], v[2:3]
	s_waitcnt lgkmcnt(1)
	v_fmac_f64_e32 v[96:97], v[40:41], v[2:3]
	v_mul_f64 v[2:3], v[104:105], v[8:9]
	v_mul_f64 v[2:3], v[106:107], v[2:3]
	s_waitcnt lgkmcnt(0)
	v_fmac_f64_e32 v[96:97], v[36:37], v[2:3]
	v_mul_f64 v[2:3], v[74:75], v[8:9]
	v_mul_f64 v[10:11], v[78:79], v[2:3]
	ds_read2_b64 v[2:5], v127 offset0:27 offset1:28
	v_mov_b64_e32 v[152:153], v[26:27]
	ds_read2_b64 v[24:27], v127 offset0:28 offset1:29
	v_mov_b64_e32 v[144:145], v[22:23]
	ds_read2_b64 v[20:23], v127 offset0:30 offset1:31
	s_waitcnt lgkmcnt(2)
	v_fmac_f64_e32 v[96:97], v[4:5], v[10:11]
	v_mul_f64 v[4:5], v[66:67], v[8:9]
	v_mul_f64 v[4:5], v[70:71], v[4:5]
	s_waitcnt lgkmcnt(1)
	v_fmac_f64_e32 v[96:97], v[4:5], v[26:27]
	v_mul_f64 v[4:5], v[162:163], v[6:7]
	v_mul_f64 v[4:5], v[114:115], v[4:5]
	v_accvgpr_write_b32 a8, v18
	v_mul_f64 v[8:9], v[116:117], v[4:5]
	v_accvgpr_write_b32 a9, v19
	v_mul_f64 v[8:9], v[212:213], v[8:9]
	ds_read2_b64 v[16:19], v127 offset0:31 offset1:32
	v_fmac_f64_e32 v[96:97], v[8:9], v[132:133]
	v_mul_f64 v[8:9], v[112:113], v[4:5]
	v_mul_f64 v[8:9], v[114:115], v[8:9]
	ds_read_b64 v[10:11], v127 offset:264
	s_waitcnt lgkmcnt(2)
	v_fmac_f64_e32 v[96:97], v[8:9], v[22:23]
	v_mul_f64 v[8:9], v[104:105], v[4:5]
	v_mul_f64 v[8:9], v[106:107], v[8:9]
	s_waitcnt lgkmcnt(1)
	v_fmac_f64_e32 v[96:97], v[8:9], v[18:19]
	v_mul_f64 v[8:9], v[74:75], v[4:5]
	v_mul_f64 v[8:9], v[78:79], v[8:9]
	s_waitcnt lgkmcnt(0)
	v_fmac_f64_e32 v[96:97], v[8:9], v[10:11]
	ds_read_b64 v[8:9], v127 offset:272
	ds_read_b64 v[10:11], v127 offset:280
	v_mul_f64 v[4:5], v[66:67], v[4:5]
	v_mul_f64 v[4:5], v[70:71], v[4:5]
	v_mov_b64_e32 v[138:139], v[12:13]
	s_waitcnt lgkmcnt(1)
	v_fmac_f64_e32 v[96:97], v[4:5], v[8:9]
	v_mul_f64 v[4:5], v[122:123], v[6:7]
	v_mul_f64 v[4:5], v[106:107], v[4:5]
	;; [unrolled: 1-line block ×4, first 2 shown]
	s_waitcnt lgkmcnt(0)
	v_fmac_f64_e32 v[96:97], v[8:9], v[10:11]
	ds_read_b64 v[10:11], v127 offset:288
	v_mul_f64 v[8:9], v[112:113], v[4:5]
	v_mul_f64 v[8:9], v[114:115], v[8:9]
	v_mov_b64_e32 v[154:155], v[30:31]
	s_waitcnt lgkmcnt(0)
	v_fmac_f64_e32 v[96:97], v[8:9], v[10:11]
	ds_read_b64 v[10:11], v127 offset:296
	v_mul_f64 v[8:9], v[104:105], v[4:5]
	v_mul_f64 v[8:9], v[106:107], v[8:9]
	s_waitcnt lgkmcnt(0)
	v_fmac_f64_e32 v[96:97], v[8:9], v[10:11]
	ds_read_b64 v[10:11], v127 offset:304
	v_mul_f64 v[8:9], v[74:75], v[4:5]
	v_mul_f64 v[8:9], v[78:79], v[8:9]
	;; [unrolled: 1-line block ×4, first 2 shown]
	s_waitcnt lgkmcnt(0)
	v_fmac_f64_e32 v[96:97], v[8:9], v[10:11]
	ds_read_b64 v[8:9], v127 offset:312
	ds_read_b64 v[10:11], v127 offset:320
	s_waitcnt lgkmcnt(1)
	v_fmac_f64_e32 v[96:97], v[4:5], v[8:9]
	v_mul_f64 v[4:5], v[120:121], v[6:7]
	v_mul_f64 v[4:5], v[78:79], v[4:5]
	;; [unrolled: 1-line block ×4, first 2 shown]
	s_waitcnt lgkmcnt(0)
	v_fmac_f64_e32 v[96:97], v[8:9], v[10:11]
	ds_read_b64 v[10:11], v127 offset:328
	v_mul_f64 v[8:9], v[112:113], v[4:5]
	v_mul_f64 v[8:9], v[114:115], v[8:9]
	s_waitcnt lgkmcnt(0)
	v_fmac_f64_e32 v[96:97], v[8:9], v[10:11]
	ds_read_b64 v[10:11], v127 offset:336
	v_mul_f64 v[8:9], v[104:105], v[4:5]
	v_mul_f64 v[8:9], v[106:107], v[8:9]
	;; [unrolled: 5-line block ×3, first 2 shown]
	v_mul_f64 v[4:5], v[66:67], v[4:5]
	v_mul_f64 v[4:5], v[70:71], v[4:5]
	s_waitcnt lgkmcnt(0)
	v_fmac_f64_e32 v[96:97], v[8:9], v[10:11]
	ds_read_b64 v[8:9], v127 offset:352
	s_waitcnt lgkmcnt(0)
	v_fmac_f64_e32 v[96:97], v[4:5], v[8:9]
	ds_read_b64 v[8:9], v127 offset:360
	v_mul_f64 v[4:5], v[118:119], v[6:7]
	v_mul_f64 v[4:5], v[70:71], v[4:5]
	;; [unrolled: 1-line block ×4, first 2 shown]
	s_waitcnt lgkmcnt(0)
	v_fmac_f64_e32 v[96:97], v[6:7], v[8:9]
	ds_read_b64 v[8:9], v127 offset:368
	v_mul_f64 v[6:7], v[112:113], v[4:5]
	v_mul_f64 v[6:7], v[114:115], v[6:7]
	s_waitcnt lgkmcnt(0)
	v_fmac_f64_e32 v[96:97], v[6:7], v[8:9]
	ds_read_b64 v[8:9], v127 offset:376
	v_mul_f64 v[6:7], v[104:105], v[4:5]
	v_mul_f64 v[6:7], v[106:107], v[6:7]
	;; [unrolled: 5-line block ×3, first 2 shown]
	v_mul_f64 v[4:5], v[66:67], v[4:5]
	v_mul_f64 v[4:5], v[70:71], v[4:5]
	s_waitcnt lgkmcnt(0)
	v_fmac_f64_e32 v[96:97], v[6:7], v[8:9]
	ds_read_b64 v[6:7], v127 offset:392
	s_waitcnt lgkmcnt(0)
	v_fmac_f64_e32 v[96:97], v[4:5], v[6:7]
	ds_read_b64 v[4:5], v126 offset:64
	ds_read_b64 v[6:7], v252 offset:64
	;; [unrolled: 1-line block ×3, first 2 shown]
	s_waitcnt lgkmcnt(1)
	v_mul_f64 v[4:5], v[4:5], v[6:7]
	v_mul_f64 v[6:7], v[166:167], v[4:5]
	;; [unrolled: 1-line block ×5, first 2 shown]
	s_waitcnt lgkmcnt(0)
	v_fmac_f64_e32 v[96:97], v[10:11], v[8:9]
	ds_read_b64 v[10:11], v127 offset:408
	v_mul_f64 v[8:9], v[112:113], v[6:7]
	v_mul_f64 v[8:9], v[114:115], v[8:9]
	s_waitcnt lgkmcnt(0)
	v_fmac_f64_e32 v[96:97], v[10:11], v[8:9]
	ds_read_b64 v[10:11], v127 offset:416
	v_mul_f64 v[8:9], v[104:105], v[6:7]
	v_mul_f64 v[8:9], v[106:107], v[8:9]
	s_waitcnt lgkmcnt(0)
	v_fmac_f64_e32 v[96:97], v[10:11], v[8:9]
	ds_read_b64 v[10:11], v127 offset:424
	v_mul_f64 v[8:9], v[74:75], v[6:7]
	v_mul_f64 v[8:9], v[78:79], v[8:9]
	v_mul_f64 v[6:7], v[66:67], v[6:7]
	v_mul_f64 v[6:7], v[70:71], v[6:7]
	s_waitcnt lgkmcnt(0)
	v_fmac_f64_e32 v[96:97], v[10:11], v[8:9]
	ds_read_b64 v[8:9], v127 offset:432
	ds_read_b64 v[10:11], v127 offset:440
	s_waitcnt lgkmcnt(1)
	v_fmac_f64_e32 v[96:97], v[6:7], v[8:9]
	v_mul_f64 v[6:7], v[162:163], v[4:5]
	v_mul_f64 v[6:7], v[114:115], v[6:7]
	v_mul_f64 v[8:9], v[116:117], v[6:7]
	v_mul_f64 v[8:9], v[212:213], v[8:9]
	s_waitcnt lgkmcnt(0)
	v_fmac_f64_e32 v[96:97], v[8:9], v[10:11]
	ds_read_b64 v[10:11], v127 offset:448
	v_mul_f64 v[8:9], v[112:113], v[6:7]
	v_mul_f64 v[8:9], v[114:115], v[8:9]
	s_waitcnt lgkmcnt(0)
	v_fmac_f64_e32 v[96:97], v[8:9], v[10:11]
	ds_read_b64 v[10:11], v127 offset:456
	v_mul_f64 v[8:9], v[104:105], v[6:7]
	v_mul_f64 v[8:9], v[106:107], v[8:9]
	s_waitcnt lgkmcnt(0)
	v_fmac_f64_e32 v[96:97], v[8:9], v[10:11]
	ds_read_b64 v[10:11], v127 offset:464
	v_mul_f64 v[8:9], v[74:75], v[6:7]
	v_mul_f64 v[8:9], v[78:79], v[8:9]
	v_mul_f64 v[6:7], v[66:67], v[6:7]
	v_mul_f64 v[6:7], v[70:71], v[6:7]
	s_waitcnt lgkmcnt(0)
	v_fmac_f64_e32 v[96:97], v[8:9], v[10:11]
	ds_read_b64 v[8:9], v127 offset:472
	ds_read_b64 v[10:11], v127 offset:480
	s_waitcnt lgkmcnt(1)
	v_fmac_f64_e32 v[96:97], v[6:7], v[8:9]
	v_mul_f64 v[6:7], v[122:123], v[4:5]
	v_mul_f64 v[6:7], v[106:107], v[6:7]
	v_mul_f64 v[8:9], v[116:117], v[6:7]
	v_mul_f64 v[8:9], v[212:213], v[8:9]
	;; [unrolled: 27-line block ×3, first 2 shown]
	s_waitcnt lgkmcnt(0)
	v_fmac_f64_e32 v[96:97], v[8:9], v[10:11]
	ds_read_b64 v[10:11], v127 offset:528
	v_mul_f64 v[8:9], v[112:113], v[6:7]
	v_mul_f64 v[8:9], v[114:115], v[8:9]
	;; [unrolled: 1-line block ×4, first 2 shown]
	s_waitcnt lgkmcnt(0)
	v_fmac_f64_e32 v[96:97], v[8:9], v[10:11]
	ds_read_b64 v[10:11], v127 offset:536
	v_mul_f64 v[8:9], v[104:105], v[6:7]
	v_mul_f64 v[8:9], v[106:107], v[8:9]
	s_waitcnt lgkmcnt(0)
	v_fmac_f64_e32 v[96:97], v[8:9], v[10:11]
	ds_read_b64 v[10:11], v127 offset:544
	v_mul_f64 v[8:9], v[74:75], v[6:7]
	v_mul_f64 v[8:9], v[78:79], v[8:9]
	;; [unrolled: 1-line block ×4, first 2 shown]
	s_waitcnt lgkmcnt(0)
	v_fmac_f64_e32 v[96:97], v[8:9], v[10:11]
	ds_read_b64 v[8:9], v127 offset:552
	s_waitcnt lgkmcnt(0)
	v_fmac_f64_e32 v[96:97], v[6:7], v[8:9]
	ds_read_b64 v[8:9], v127 offset:560
	v_mul_f64 v[6:7], v[116:117], v[4:5]
	v_mul_f64 v[6:7], v[212:213], v[6:7]
	s_waitcnt lgkmcnt(0)
	v_fmac_f64_e32 v[96:97], v[6:7], v[8:9]
	ds_read_b64 v[8:9], v127 offset:568
	v_mul_f64 v[6:7], v[112:113], v[4:5]
	v_mul_f64 v[6:7], v[114:115], v[6:7]
	;; [unrolled: 5-line block ×4, first 2 shown]
	v_mul_f64 v[4:5], v[66:67], v[4:5]
	v_mul_f64 v[4:5], v[70:71], v[4:5]
	s_waitcnt lgkmcnt(0)
	v_fmac_f64_e32 v[96:97], v[6:7], v[8:9]
	ds_read_b64 v[6:7], v127 offset:592
	s_waitcnt lgkmcnt(0)
	v_fmac_f64_e32 v[96:97], v[4:5], v[6:7]
	ds_read_b64 v[4:5], v126 offset:96
	ds_read_b64 v[6:7], v252 offset:96
	;; [unrolled: 1-line block ×3, first 2 shown]
	s_waitcnt lgkmcnt(1)
	v_mul_f64 v[4:5], v[4:5], v[6:7]
	v_mul_f64 v[6:7], v[166:167], v[4:5]
	;; [unrolled: 1-line block ×5, first 2 shown]
	s_waitcnt lgkmcnt(0)
	v_fmac_f64_e32 v[96:97], v[10:11], v[8:9]
	ds_read_b64 v[10:11], v127 offset:608
	v_mul_f64 v[8:9], v[112:113], v[6:7]
	v_mul_f64 v[8:9], v[114:115], v[8:9]
	s_waitcnt lgkmcnt(0)
	v_fmac_f64_e32 v[96:97], v[10:11], v[8:9]
	ds_read_b64 v[10:11], v127 offset:616
	v_mul_f64 v[8:9], v[104:105], v[6:7]
	v_mul_f64 v[8:9], v[106:107], v[8:9]
	s_waitcnt lgkmcnt(0)
	v_fmac_f64_e32 v[96:97], v[10:11], v[8:9]
	ds_read_b64 v[10:11], v127 offset:624
	v_mul_f64 v[8:9], v[74:75], v[6:7]
	v_mul_f64 v[8:9], v[78:79], v[8:9]
	v_mul_f64 v[6:7], v[66:67], v[6:7]
	v_mul_f64 v[6:7], v[70:71], v[6:7]
	s_waitcnt lgkmcnt(0)
	v_fmac_f64_e32 v[96:97], v[10:11], v[8:9]
	ds_read_b64 v[8:9], v127 offset:632
	ds_read_b64 v[10:11], v127 offset:640
	s_waitcnt lgkmcnt(1)
	v_fmac_f64_e32 v[96:97], v[6:7], v[8:9]
	v_mul_f64 v[6:7], v[162:163], v[4:5]
	v_mul_f64 v[6:7], v[114:115], v[6:7]
	v_mul_f64 v[8:9], v[116:117], v[6:7]
	v_mul_f64 v[8:9], v[212:213], v[8:9]
	s_waitcnt lgkmcnt(0)
	v_fmac_f64_e32 v[96:97], v[8:9], v[10:11]
	ds_read_b64 v[10:11], v127 offset:648
	v_mul_f64 v[8:9], v[112:113], v[6:7]
	v_mul_f64 v[8:9], v[114:115], v[8:9]
	s_waitcnt lgkmcnt(0)
	v_fmac_f64_e32 v[96:97], v[8:9], v[10:11]
	ds_read_b64 v[10:11], v127 offset:656
	v_mul_f64 v[8:9], v[104:105], v[6:7]
	v_mul_f64 v[8:9], v[106:107], v[8:9]
	s_waitcnt lgkmcnt(0)
	v_fmac_f64_e32 v[96:97], v[8:9], v[10:11]
	ds_read_b64 v[10:11], v127 offset:664
	v_mul_f64 v[8:9], v[74:75], v[6:7]
	v_mul_f64 v[8:9], v[78:79], v[8:9]
	v_mul_f64 v[6:7], v[66:67], v[6:7]
	v_mul_f64 v[6:7], v[70:71], v[6:7]
	s_waitcnt lgkmcnt(0)
	v_fmac_f64_e32 v[96:97], v[8:9], v[10:11]
	ds_read_b64 v[8:9], v127 offset:672
	ds_read_b64 v[10:11], v127 offset:680
	s_waitcnt lgkmcnt(1)
	v_fmac_f64_e32 v[96:97], v[6:7], v[8:9]
	v_mul_f64 v[6:7], v[122:123], v[4:5]
	v_mul_f64 v[6:7], v[106:107], v[6:7]
	v_mul_f64 v[8:9], v[116:117], v[6:7]
	v_mul_f64 v[8:9], v[212:213], v[8:9]
	;; [unrolled: 27-line block ×3, first 2 shown]
	s_waitcnt lgkmcnt(0)
	v_fmac_f64_e32 v[96:97], v[8:9], v[10:11]
	ds_read_b64 v[10:11], v127 offset:728
	v_mul_f64 v[8:9], v[112:113], v[6:7]
	v_mul_f64 v[8:9], v[114:115], v[8:9]
	;; [unrolled: 1-line block ×4, first 2 shown]
	s_waitcnt lgkmcnt(0)
	v_fmac_f64_e32 v[96:97], v[8:9], v[10:11]
	ds_read_b64 v[10:11], v127 offset:736
	v_mul_f64 v[8:9], v[104:105], v[6:7]
	v_mul_f64 v[8:9], v[106:107], v[8:9]
	s_waitcnt lgkmcnt(0)
	v_fmac_f64_e32 v[96:97], v[8:9], v[10:11]
	ds_read_b64 v[10:11], v127 offset:744
	v_mul_f64 v[8:9], v[74:75], v[6:7]
	v_mul_f64 v[8:9], v[78:79], v[8:9]
	;; [unrolled: 1-line block ×4, first 2 shown]
	s_waitcnt lgkmcnt(0)
	v_fmac_f64_e32 v[96:97], v[8:9], v[10:11]
	ds_read_b64 v[8:9], v127 offset:752
	s_waitcnt lgkmcnt(0)
	v_fmac_f64_e32 v[96:97], v[6:7], v[8:9]
	ds_read_b64 v[8:9], v127 offset:760
	v_mul_f64 v[6:7], v[116:117], v[4:5]
	v_mul_f64 v[6:7], v[212:213], v[6:7]
	s_waitcnt lgkmcnt(0)
	v_fmac_f64_e32 v[96:97], v[6:7], v[8:9]
	ds_read_b64 v[8:9], v127 offset:768
	v_mul_f64 v[6:7], v[112:113], v[4:5]
	v_mul_f64 v[6:7], v[114:115], v[6:7]
	;; [unrolled: 5-line block ×4, first 2 shown]
	v_mul_f64 v[4:5], v[66:67], v[4:5]
	v_mul_f64 v[4:5], v[70:71], v[4:5]
	s_waitcnt lgkmcnt(0)
	v_fmac_f64_e32 v[96:97], v[6:7], v[8:9]
	ds_read_b64 v[6:7], v127 offset:792
	s_waitcnt lgkmcnt(0)
	v_fmac_f64_e32 v[96:97], v[4:5], v[6:7]
	ds_read_b64 v[4:5], v126 offset:128
	ds_read_b64 v[6:7], v252 offset:128
	;; [unrolled: 1-line block ×3, first 2 shown]
	s_waitcnt lgkmcnt(1)
	v_mul_f64 v[4:5], v[4:5], v[6:7]
	v_mul_f64 v[6:7], v[166:167], v[4:5]
	;; [unrolled: 1-line block ×5, first 2 shown]
	s_waitcnt lgkmcnt(0)
	v_fmac_f64_e32 v[96:97], v[10:11], v[8:9]
	ds_read_b64 v[10:11], v127 offset:808
	v_mul_f64 v[8:9], v[112:113], v[6:7]
	v_mul_f64 v[8:9], v[114:115], v[8:9]
	s_waitcnt lgkmcnt(0)
	v_fmac_f64_e32 v[96:97], v[10:11], v[8:9]
	ds_read_b64 v[10:11], v127 offset:816
	v_mul_f64 v[8:9], v[104:105], v[6:7]
	v_mul_f64 v[8:9], v[106:107], v[8:9]
	s_waitcnt lgkmcnt(0)
	v_fmac_f64_e32 v[96:97], v[10:11], v[8:9]
	ds_read_b64 v[10:11], v127 offset:824
	v_mul_f64 v[8:9], v[74:75], v[6:7]
	v_mul_f64 v[8:9], v[78:79], v[8:9]
	v_mul_f64 v[6:7], v[66:67], v[6:7]
	v_mul_f64 v[6:7], v[70:71], v[6:7]
	s_waitcnt lgkmcnt(0)
	v_fmac_f64_e32 v[96:97], v[10:11], v[8:9]
	ds_read_b64 v[8:9], v127 offset:832
	ds_read_b64 v[10:11], v127 offset:840
	s_waitcnt lgkmcnt(1)
	v_fmac_f64_e32 v[96:97], v[6:7], v[8:9]
	v_mul_f64 v[6:7], v[162:163], v[4:5]
	v_mul_f64 v[6:7], v[114:115], v[6:7]
	v_mul_f64 v[8:9], v[116:117], v[6:7]
	v_mul_f64 v[8:9], v[212:213], v[8:9]
	s_waitcnt lgkmcnt(0)
	v_fmac_f64_e32 v[96:97], v[8:9], v[10:11]
	ds_read_b64 v[10:11], v127 offset:848
	v_mul_f64 v[8:9], v[112:113], v[6:7]
	v_mul_f64 v[8:9], v[114:115], v[8:9]
	s_waitcnt lgkmcnt(0)
	v_fmac_f64_e32 v[96:97], v[8:9], v[10:11]
	ds_read_b64 v[10:11], v127 offset:856
	v_mul_f64 v[8:9], v[104:105], v[6:7]
	v_mul_f64 v[8:9], v[106:107], v[8:9]
	s_waitcnt lgkmcnt(0)
	v_fmac_f64_e32 v[96:97], v[8:9], v[10:11]
	ds_read_b64 v[10:11], v127 offset:864
	v_mul_f64 v[8:9], v[74:75], v[6:7]
	v_mul_f64 v[8:9], v[78:79], v[8:9]
	v_mul_f64 v[6:7], v[66:67], v[6:7]
	v_mul_f64 v[6:7], v[70:71], v[6:7]
	s_waitcnt lgkmcnt(0)
	v_fmac_f64_e32 v[96:97], v[8:9], v[10:11]
	ds_read_b64 v[8:9], v127 offset:872
	ds_read_b64 v[10:11], v127 offset:880
	s_waitcnt lgkmcnt(1)
	v_fmac_f64_e32 v[96:97], v[6:7], v[8:9]
	v_mul_f64 v[6:7], v[122:123], v[4:5]
	v_mul_f64 v[6:7], v[106:107], v[6:7]
	v_mul_f64 v[8:9], v[116:117], v[6:7]
	v_mul_f64 v[8:9], v[212:213], v[8:9]
	s_waitcnt lgkmcnt(0)
	v_fmac_f64_e32 v[96:97], v[8:9], v[10:11]
	ds_read_b64 v[10:11], v127 offset:888
	v_mul_f64 v[8:9], v[112:113], v[6:7]
	v_mul_f64 v[8:9], v[114:115], v[8:9]
	s_waitcnt lgkmcnt(0)
	v_fmac_f64_e32 v[96:97], v[8:9], v[10:11]
	ds_read_b64 v[10:11], v127 offset:896
	v_mul_f64 v[8:9], v[104:105], v[6:7]
	v_mul_f64 v[8:9], v[106:107], v[8:9]
	s_waitcnt lgkmcnt(0)
	v_fmac_f64_e32 v[96:97], v[8:9], v[10:11]
	ds_read_b64 v[10:11], v127 offset:904
	v_mul_f64 v[8:9], v[74:75], v[6:7]
	v_mul_f64 v[8:9], v[78:79], v[8:9]
	v_mul_f64 v[6:7], v[66:67], v[6:7]
	v_mul_f64 v[6:7], v[70:71], v[6:7]
	s_waitcnt lgkmcnt(0)
	v_fmac_f64_e32 v[96:97], v[8:9], v[10:11]
	ds_read_b64 v[8:9], v127 offset:912
	ds_read_b64 v[10:11], v127 offset:920
	s_waitcnt lgkmcnt(1)
	v_fmac_f64_e32 v[96:97], v[6:7], v[8:9]
	v_mul_f64 v[6:7], v[120:121], v[4:5]
	v_mul_f64 v[6:7], v[78:79], v[6:7]
	v_mul_f64 v[8:9], v[116:117], v[6:7]
	v_mul_f64 v[8:9], v[212:213], v[8:9]
	s_waitcnt lgkmcnt(0)
	v_fmac_f64_e32 v[96:97], v[8:9], v[10:11]
	ds_read_b64 v[10:11], v127 offset:928
	v_mul_f64 v[8:9], v[112:113], v[6:7]
	v_mul_f64 v[8:9], v[114:115], v[8:9]
	;; [unrolled: 1-line block ×4, first 2 shown]
	s_waitcnt lgkmcnt(0)
	v_fmac_f64_e32 v[96:97], v[8:9], v[10:11]
	ds_read_b64 v[10:11], v127 offset:936
	v_mul_f64 v[8:9], v[104:105], v[6:7]
	v_mul_f64 v[8:9], v[106:107], v[8:9]
	s_waitcnt lgkmcnt(0)
	v_fmac_f64_e32 v[96:97], v[8:9], v[10:11]
	ds_read_b64 v[10:11], v127 offset:944
	v_mul_f64 v[8:9], v[74:75], v[6:7]
	v_mul_f64 v[8:9], v[78:79], v[8:9]
	;; [unrolled: 1-line block ×4, first 2 shown]
	s_waitcnt lgkmcnt(0)
	v_fmac_f64_e32 v[96:97], v[8:9], v[10:11]
	ds_read_b64 v[8:9], v127 offset:952
	s_waitcnt lgkmcnt(0)
	v_fmac_f64_e32 v[96:97], v[6:7], v[8:9]
	ds_read_b64 v[8:9], v127 offset:960
	v_mul_f64 v[6:7], v[116:117], v[4:5]
	v_mul_f64 v[6:7], v[212:213], v[6:7]
	s_waitcnt lgkmcnt(0)
	v_fmac_f64_e32 v[96:97], v[6:7], v[8:9]
	ds_read_b64 v[8:9], v127 offset:968
	v_mul_f64 v[6:7], v[112:113], v[4:5]
	v_mul_f64 v[6:7], v[114:115], v[6:7]
	;; [unrolled: 5-line block ×4, first 2 shown]
	v_mul_f64 v[4:5], v[66:67], v[4:5]
	v_mul_f64 v[4:5], v[70:71], v[4:5]
	s_waitcnt lgkmcnt(0)
	v_fmac_f64_e32 v[96:97], v[6:7], v[8:9]
	ds_read_b64 v[6:7], v127 offset:992
	s_waitcnt lgkmcnt(0)
	v_fmac_f64_e32 v[96:97], v[4:5], v[6:7]
	v_accvgpr_read_b32 v4, a222
	v_accvgpr_read_b32 v5, a223
	global_store_dwordx2 v[4:5], v[96:97], off offset:2048
	ds_read2_b64 v[228:231], v127 offset0:127 offset1:128
	ds_read_b64 v[36:37], v125
	ds_read_b64 v[32:33], v125 offset:32
	ds_read2_b64 v[242:245], v127 offset0:131 offset1:132
	ds_read_b64 v[26:27], v125 offset:64
	ds_read2_b64 v[238:241], v127 offset0:135 offset1:136
	;; [unrolled: 2-line block ×4, first 2 shown]
	ds_read_b64 v[74:75], v127 offset:1016
	ds_read_b64 v[78:79], v124
	ds_read_b64 v[66:67], v124 offset:32
	ds_read_b64 v[70:71], v127 offset:1048
	;; [unrolled: 1-line block ×8, first 2 shown]
	ds_read_b64 v[4:5], v126
	ds_read_b64 v[6:7], v126 offset:32
	ds_read_b64 v[8:9], v252
	ds_read_b64 v[10:11], v252 offset:32
	;; [unrolled: 2-line block ×3, first 2 shown]
	ds_read_b64 v[30:31], v127 offset:16
	ds_read_b64 v[88:89], v127 offset:24
	;; [unrolled: 1-line block ×6, first 2 shown]
	s_waitcnt lgkmcnt(9)
	v_mul_f64 v[4:5], v[4:5], v[8:9]
	v_mul_f64 v[8:9], v[78:79], v[4:5]
	;; [unrolled: 1-line block ×5, first 2 shown]
	s_waitcnt lgkmcnt(7)
	v_fma_f64 v[84:85], v[14:15], v[12:13], 0
	v_mul_f64 v[12:13], v[32:33], v[8:9]
	v_mul_f64 v[12:13], v[244:245], v[12:13]
	s_waitcnt lgkmcnt(6)
	v_fmac_f64_e32 v[84:85], v[28:29], v[12:13]
	v_mul_f64 v[12:13], v[26:27], v[8:9]
	v_mul_f64 v[12:13], v[240:241], v[12:13]
	s_waitcnt lgkmcnt(5)
	v_fmac_f64_e32 v[84:85], v[30:31], v[12:13]
	v_mul_f64 v[12:13], v[22:23], v[8:9]
	v_mul_f64 v[12:13], v[248:249], v[12:13]
	;; [unrolled: 1-line block ×3, first 2 shown]
	s_waitcnt lgkmcnt(4)
	v_fmac_f64_e32 v[84:85], v[88:89], v[12:13]
	v_mul_f64 v[8:9], v[120:121], v[8:9]
	s_waitcnt lgkmcnt(3)
	v_fmac_f64_e32 v[84:85], v[8:9], v[92:93]
	v_mul_f64 v[8:9], v[66:67], v[4:5]
	v_mul_f64 v[8:9], v[70:71], v[8:9]
	;; [unrolled: 1-line block ×4, first 2 shown]
	s_waitcnt lgkmcnt(2)
	v_fmac_f64_e32 v[84:85], v[12:13], v[96:97]
	v_mul_f64 v[12:13], v[32:33], v[8:9]
	v_mul_f64 v[12:13], v[244:245], v[12:13]
	ds_read_b64 v[14:15], v127 offset:64
	s_waitcnt lgkmcnt(2)
	v_fmac_f64_e32 v[84:85], v[12:13], v[98:99]
	v_mul_f64 v[12:13], v[26:27], v[8:9]
	v_mul_f64 v[12:13], v[240:241], v[12:13]
	s_waitcnt lgkmcnt(1)
	v_fmac_f64_e32 v[84:85], v[12:13], v[102:103]
	v_mul_f64 v[12:13], v[22:23], v[8:9]
	v_mul_f64 v[12:13], v[248:249], v[12:13]
	s_waitcnt lgkmcnt(0)
	v_fmac_f64_e32 v[84:85], v[12:13], v[14:15]
	ds_read_b64 v[12:13], v127 offset:72
	ds_read_b64 v[14:15], v127 offset:80
	v_mul_f64 v[8:9], v[18:19], v[8:9]
	v_mul_f64 v[8:9], v[120:121], v[8:9]
	s_waitcnt lgkmcnt(1)
	v_fmac_f64_e32 v[84:85], v[8:9], v[12:13]
	v_mul_f64 v[8:9], v[56:57], v[4:5]
	v_mul_f64 v[8:9], v[62:63], v[8:9]
	;; [unrolled: 1-line block ×4, first 2 shown]
	s_waitcnt lgkmcnt(0)
	v_fmac_f64_e32 v[84:85], v[12:13], v[14:15]
	ds_read_b64 v[14:15], v127 offset:88
	v_mul_f64 v[12:13], v[32:33], v[8:9]
	v_mul_f64 v[12:13], v[244:245], v[12:13]
	s_waitcnt lgkmcnt(0)
	v_fmac_f64_e32 v[84:85], v[12:13], v[14:15]
	ds_read_b64 v[14:15], v127 offset:96
	v_mul_f64 v[12:13], v[26:27], v[8:9]
	v_mul_f64 v[12:13], v[240:241], v[12:13]
	s_waitcnt lgkmcnt(0)
	v_fmac_f64_e32 v[84:85], v[12:13], v[14:15]
	ds_read_b64 v[14:15], v127 offset:104
	v_mul_f64 v[12:13], v[22:23], v[8:9]
	v_mul_f64 v[12:13], v[248:249], v[12:13]
	v_mul_f64 v[8:9], v[18:19], v[8:9]
	v_mul_f64 v[8:9], v[120:121], v[8:9]
	s_waitcnt lgkmcnt(0)
	v_fmac_f64_e32 v[84:85], v[12:13], v[14:15]
	ds_read_b64 v[12:13], v127 offset:112
	ds_read_b64 v[14:15], v127 offset:120
	s_waitcnt lgkmcnt(1)
	v_fmac_f64_e32 v[84:85], v[8:9], v[12:13]
	v_mul_f64 v[8:9], v[48:49], v[4:5]
	v_mul_f64 v[8:9], v[52:53], v[8:9]
	;; [unrolled: 1-line block ×4, first 2 shown]
	s_waitcnt lgkmcnt(0)
	v_fmac_f64_e32 v[84:85], v[12:13], v[14:15]
	ds_read_b64 v[14:15], v127 offset:128
	v_mul_f64 v[12:13], v[32:33], v[8:9]
	v_mul_f64 v[12:13], v[244:245], v[12:13]
	;; [unrolled: 1-line block ×4, first 2 shown]
	s_waitcnt lgkmcnt(0)
	v_fmac_f64_e32 v[84:85], v[12:13], v[14:15]
	ds_read_b64 v[14:15], v127 offset:136
	v_mul_f64 v[12:13], v[26:27], v[8:9]
	v_mul_f64 v[12:13], v[240:241], v[12:13]
	s_waitcnt lgkmcnt(0)
	v_fmac_f64_e32 v[84:85], v[12:13], v[14:15]
	ds_read_b64 v[14:15], v127 offset:144
	v_mul_f64 v[12:13], v[22:23], v[8:9]
	v_mul_f64 v[12:13], v[248:249], v[12:13]
	;; [unrolled: 1-line block ×4, first 2 shown]
	s_waitcnt lgkmcnt(0)
	v_fmac_f64_e32 v[84:85], v[12:13], v[14:15]
	ds_read_b64 v[12:13], v127 offset:152
	s_waitcnt lgkmcnt(0)
	v_fmac_f64_e32 v[84:85], v[8:9], v[12:13]
	ds_read_b64 v[12:13], v127 offset:160
	v_mul_f64 v[8:9], v[36:37], v[4:5]
	v_mul_f64 v[8:9], v[230:231], v[8:9]
	s_waitcnt lgkmcnt(0)
	v_fmac_f64_e32 v[84:85], v[8:9], v[12:13]
	ds_read_b64 v[12:13], v127 offset:168
	v_mul_f64 v[8:9], v[32:33], v[4:5]
	v_mul_f64 v[8:9], v[244:245], v[8:9]
	;; [unrolled: 5-line block ×4, first 2 shown]
	v_mul_f64 v[4:5], v[18:19], v[4:5]
	v_mul_f64 v[4:5], v[120:121], v[4:5]
	s_waitcnt lgkmcnt(0)
	v_fmac_f64_e32 v[84:85], v[8:9], v[12:13]
	ds_read_b64 v[8:9], v127 offset:192
	s_waitcnt lgkmcnt(0)
	v_fmac_f64_e32 v[84:85], v[4:5], v[8:9]
	v_mul_f64 v[4:5], v[6:7], v[10:11]
	ds_read_b64 v[10:11], v127 offset:200
	v_mul_f64 v[6:7], v[78:79], v[4:5]
	v_mul_f64 v[6:7], v[74:75], v[6:7]
	v_mul_f64 v[8:9], v[36:37], v[6:7]
	v_mul_f64 v[8:9], v[230:231], v[8:9]
	s_waitcnt lgkmcnt(0)
	v_fmac_f64_e32 v[84:85], v[10:11], v[8:9]
	ds_read_b64 v[10:11], v127 offset:208
	v_mul_f64 v[8:9], v[32:33], v[6:7]
	v_mul_f64 v[8:9], v[244:245], v[8:9]
	s_waitcnt lgkmcnt(0)
	v_fmac_f64_e32 v[84:85], v[10:11], v[8:9]
	ds_read_b64 v[10:11], v127 offset:216
	v_mul_f64 v[8:9], v[26:27], v[6:7]
	v_mul_f64 v[8:9], v[240:241], v[8:9]
	s_waitcnt lgkmcnt(0)
	v_fmac_f64_e32 v[84:85], v[10:11], v[8:9]
	ds_read_b64 v[10:11], v127 offset:224
	v_mul_f64 v[8:9], v[22:23], v[6:7]
	v_mul_f64 v[8:9], v[248:249], v[8:9]
	v_mul_f64 v[6:7], v[18:19], v[6:7]
	v_mul_f64 v[6:7], v[120:121], v[6:7]
	s_waitcnt lgkmcnt(0)
	v_fmac_f64_e32 v[84:85], v[10:11], v[8:9]
	ds_read_b64 v[8:9], v127 offset:232
	ds_read_b64 v[10:11], v127 offset:240
	s_waitcnt lgkmcnt(1)
	v_fmac_f64_e32 v[84:85], v[6:7], v[8:9]
	v_mul_f64 v[6:7], v[66:67], v[4:5]
	v_mul_f64 v[6:7], v[70:71], v[6:7]
	v_mul_f64 v[8:9], v[36:37], v[6:7]
	v_mul_f64 v[8:9], v[230:231], v[8:9]
	s_waitcnt lgkmcnt(0)
	v_fmac_f64_e32 v[84:85], v[8:9], v[10:11]
	ds_read_b64 v[10:11], v127 offset:248
	v_mul_f64 v[8:9], v[32:33], v[6:7]
	v_mul_f64 v[8:9], v[244:245], v[8:9]
	s_waitcnt lgkmcnt(0)
	v_fmac_f64_e32 v[84:85], v[8:9], v[10:11]
	ds_read_b64 v[10:11], v127 offset:256
	v_mul_f64 v[8:9], v[26:27], v[6:7]
	v_mul_f64 v[8:9], v[240:241], v[8:9]
	s_waitcnt lgkmcnt(0)
	v_fmac_f64_e32 v[84:85], v[8:9], v[10:11]
	ds_read_b64 v[10:11], v127 offset:264
	v_mul_f64 v[8:9], v[22:23], v[6:7]
	v_mul_f64 v[8:9], v[248:249], v[8:9]
	v_mul_f64 v[6:7], v[18:19], v[6:7]
	v_mul_f64 v[6:7], v[120:121], v[6:7]
	s_waitcnt lgkmcnt(0)
	v_fmac_f64_e32 v[84:85], v[8:9], v[10:11]
	ds_read_b64 v[8:9], v127 offset:272
	ds_read_b64 v[10:11], v127 offset:280
	s_waitcnt lgkmcnt(1)
	v_fmac_f64_e32 v[84:85], v[6:7], v[8:9]
	;; [unrolled: 27-line block ×3, first 2 shown]
	v_mul_f64 v[6:7], v[48:49], v[4:5]
	v_mul_f64 v[6:7], v[52:53], v[6:7]
	;; [unrolled: 1-line block ×4, first 2 shown]
	s_waitcnt lgkmcnt(0)
	v_fmac_f64_e32 v[84:85], v[8:9], v[10:11]
	ds_read_b64 v[10:11], v127 offset:328
	v_mul_f64 v[8:9], v[32:33], v[6:7]
	v_mul_f64 v[8:9], v[244:245], v[8:9]
	;; [unrolled: 1-line block ×4, first 2 shown]
	s_waitcnt lgkmcnt(0)
	v_fmac_f64_e32 v[84:85], v[8:9], v[10:11]
	ds_read_b64 v[10:11], v127 offset:336
	v_mul_f64 v[8:9], v[26:27], v[6:7]
	v_mul_f64 v[8:9], v[240:241], v[8:9]
	s_waitcnt lgkmcnt(0)
	v_fmac_f64_e32 v[84:85], v[8:9], v[10:11]
	ds_read_b64 v[10:11], v127 offset:344
	v_mul_f64 v[8:9], v[22:23], v[6:7]
	v_mul_f64 v[8:9], v[248:249], v[8:9]
	;; [unrolled: 1-line block ×4, first 2 shown]
	s_waitcnt lgkmcnt(0)
	v_fmac_f64_e32 v[84:85], v[8:9], v[10:11]
	ds_read_b64 v[8:9], v127 offset:352
	s_waitcnt lgkmcnt(0)
	v_fmac_f64_e32 v[84:85], v[6:7], v[8:9]
	ds_read_b64 v[8:9], v127 offset:360
	v_mul_f64 v[6:7], v[36:37], v[4:5]
	v_mul_f64 v[6:7], v[230:231], v[6:7]
	s_waitcnt lgkmcnt(0)
	v_fmac_f64_e32 v[84:85], v[6:7], v[8:9]
	ds_read_b64 v[8:9], v127 offset:368
	v_mul_f64 v[6:7], v[32:33], v[4:5]
	v_mul_f64 v[6:7], v[244:245], v[6:7]
	;; [unrolled: 5-line block ×4, first 2 shown]
	v_mul_f64 v[4:5], v[18:19], v[4:5]
	v_mul_f64 v[4:5], v[120:121], v[4:5]
	s_waitcnt lgkmcnt(0)
	v_fmac_f64_e32 v[84:85], v[6:7], v[8:9]
	ds_read_b64 v[6:7], v127 offset:392
	s_waitcnt lgkmcnt(0)
	v_fmac_f64_e32 v[84:85], v[4:5], v[6:7]
	ds_read_b64 v[4:5], v126 offset:64
	ds_read_b64 v[6:7], v252 offset:64
	;; [unrolled: 1-line block ×3, first 2 shown]
	s_waitcnt lgkmcnt(1)
	v_mul_f64 v[4:5], v[4:5], v[6:7]
	v_mul_f64 v[6:7], v[78:79], v[4:5]
	;; [unrolled: 1-line block ×5, first 2 shown]
	s_waitcnt lgkmcnt(0)
	v_fmac_f64_e32 v[84:85], v[10:11], v[8:9]
	ds_read_b64 v[10:11], v127 offset:408
	v_mul_f64 v[8:9], v[32:33], v[6:7]
	v_mul_f64 v[8:9], v[244:245], v[8:9]
	s_waitcnt lgkmcnt(0)
	v_fmac_f64_e32 v[84:85], v[10:11], v[8:9]
	ds_read_b64 v[10:11], v127 offset:416
	v_mul_f64 v[8:9], v[26:27], v[6:7]
	v_mul_f64 v[8:9], v[240:241], v[8:9]
	s_waitcnt lgkmcnt(0)
	v_fmac_f64_e32 v[84:85], v[10:11], v[8:9]
	ds_read_b64 v[10:11], v127 offset:424
	v_mul_f64 v[8:9], v[22:23], v[6:7]
	v_mul_f64 v[8:9], v[248:249], v[8:9]
	v_mul_f64 v[6:7], v[18:19], v[6:7]
	v_mul_f64 v[6:7], v[120:121], v[6:7]
	s_waitcnt lgkmcnt(0)
	v_fmac_f64_e32 v[84:85], v[10:11], v[8:9]
	ds_read_b64 v[8:9], v127 offset:432
	ds_read_b64 v[10:11], v127 offset:440
	s_waitcnt lgkmcnt(1)
	v_fmac_f64_e32 v[84:85], v[6:7], v[8:9]
	v_mul_f64 v[6:7], v[66:67], v[4:5]
	v_mul_f64 v[6:7], v[70:71], v[6:7]
	v_mul_f64 v[8:9], v[36:37], v[6:7]
	v_mul_f64 v[8:9], v[230:231], v[8:9]
	s_waitcnt lgkmcnt(0)
	v_fmac_f64_e32 v[84:85], v[8:9], v[10:11]
	ds_read_b64 v[10:11], v127 offset:448
	v_mul_f64 v[8:9], v[32:33], v[6:7]
	v_mul_f64 v[8:9], v[244:245], v[8:9]
	s_waitcnt lgkmcnt(0)
	v_fmac_f64_e32 v[84:85], v[8:9], v[10:11]
	ds_read_b64 v[10:11], v127 offset:456
	v_mul_f64 v[8:9], v[26:27], v[6:7]
	v_mul_f64 v[8:9], v[240:241], v[8:9]
	s_waitcnt lgkmcnt(0)
	v_fmac_f64_e32 v[84:85], v[8:9], v[10:11]
	ds_read_b64 v[10:11], v127 offset:464
	v_mul_f64 v[8:9], v[22:23], v[6:7]
	v_mul_f64 v[8:9], v[248:249], v[8:9]
	v_mul_f64 v[6:7], v[18:19], v[6:7]
	v_mul_f64 v[6:7], v[120:121], v[6:7]
	s_waitcnt lgkmcnt(0)
	v_fmac_f64_e32 v[84:85], v[8:9], v[10:11]
	ds_read_b64 v[8:9], v127 offset:472
	ds_read_b64 v[10:11], v127 offset:480
	s_waitcnt lgkmcnt(1)
	v_fmac_f64_e32 v[84:85], v[6:7], v[8:9]
	v_mul_f64 v[6:7], v[56:57], v[4:5]
	v_mul_f64 v[6:7], v[62:63], v[6:7]
	v_mul_f64 v[8:9], v[36:37], v[6:7]
	v_mul_f64 v[8:9], v[230:231], v[8:9]
	;; [unrolled: 27-line block ×3, first 2 shown]
	s_waitcnt lgkmcnt(0)
	v_fmac_f64_e32 v[84:85], v[8:9], v[10:11]
	ds_read_b64 v[10:11], v127 offset:528
	v_mul_f64 v[8:9], v[32:33], v[6:7]
	v_mul_f64 v[8:9], v[244:245], v[8:9]
	;; [unrolled: 1-line block ×4, first 2 shown]
	s_waitcnt lgkmcnt(0)
	v_fmac_f64_e32 v[84:85], v[8:9], v[10:11]
	ds_read_b64 v[10:11], v127 offset:536
	v_mul_f64 v[8:9], v[26:27], v[6:7]
	v_mul_f64 v[8:9], v[240:241], v[8:9]
	s_waitcnt lgkmcnt(0)
	v_fmac_f64_e32 v[84:85], v[8:9], v[10:11]
	ds_read_b64 v[10:11], v127 offset:544
	v_mul_f64 v[8:9], v[22:23], v[6:7]
	v_mul_f64 v[8:9], v[248:249], v[8:9]
	v_mul_f64 v[6:7], v[18:19], v[6:7]
	v_mul_f64 v[6:7], v[120:121], v[6:7]
	s_waitcnt lgkmcnt(0)
	v_fmac_f64_e32 v[84:85], v[8:9], v[10:11]
	ds_read_b64 v[8:9], v127 offset:552
	s_waitcnt lgkmcnt(0)
	v_fmac_f64_e32 v[84:85], v[6:7], v[8:9]
	ds_read_b64 v[8:9], v127 offset:560
	v_mul_f64 v[6:7], v[36:37], v[4:5]
	v_mul_f64 v[6:7], v[230:231], v[6:7]
	s_waitcnt lgkmcnt(0)
	v_fmac_f64_e32 v[84:85], v[6:7], v[8:9]
	ds_read_b64 v[8:9], v127 offset:568
	v_mul_f64 v[6:7], v[32:33], v[4:5]
	v_mul_f64 v[6:7], v[244:245], v[6:7]
	;; [unrolled: 5-line block ×4, first 2 shown]
	v_mul_f64 v[4:5], v[18:19], v[4:5]
	v_mul_f64 v[4:5], v[120:121], v[4:5]
	s_waitcnt lgkmcnt(0)
	v_fmac_f64_e32 v[84:85], v[6:7], v[8:9]
	ds_read_b64 v[6:7], v127 offset:592
	s_waitcnt lgkmcnt(0)
	v_fmac_f64_e32 v[84:85], v[4:5], v[6:7]
	ds_read_b64 v[4:5], v126 offset:96
	ds_read_b64 v[6:7], v252 offset:96
	;; [unrolled: 1-line block ×3, first 2 shown]
	s_waitcnt lgkmcnt(1)
	v_mul_f64 v[4:5], v[4:5], v[6:7]
	v_mul_f64 v[6:7], v[78:79], v[4:5]
	;; [unrolled: 1-line block ×5, first 2 shown]
	s_waitcnt lgkmcnt(0)
	v_fmac_f64_e32 v[84:85], v[10:11], v[8:9]
	ds_read_b64 v[10:11], v127 offset:608
	v_mul_f64 v[8:9], v[32:33], v[6:7]
	v_mul_f64 v[8:9], v[244:245], v[8:9]
	s_waitcnt lgkmcnt(0)
	v_fmac_f64_e32 v[84:85], v[10:11], v[8:9]
	ds_read_b64 v[10:11], v127 offset:616
	v_mul_f64 v[8:9], v[26:27], v[6:7]
	v_mul_f64 v[8:9], v[240:241], v[8:9]
	s_waitcnt lgkmcnt(0)
	v_fmac_f64_e32 v[84:85], v[10:11], v[8:9]
	ds_read_b64 v[10:11], v127 offset:624
	v_mul_f64 v[8:9], v[22:23], v[6:7]
	v_mul_f64 v[8:9], v[248:249], v[8:9]
	v_mul_f64 v[6:7], v[18:19], v[6:7]
	v_mul_f64 v[6:7], v[120:121], v[6:7]
	s_waitcnt lgkmcnt(0)
	v_fmac_f64_e32 v[84:85], v[10:11], v[8:9]
	ds_read_b64 v[8:9], v127 offset:632
	ds_read_b64 v[10:11], v127 offset:640
	s_waitcnt lgkmcnt(1)
	v_fmac_f64_e32 v[84:85], v[6:7], v[8:9]
	v_mul_f64 v[6:7], v[66:67], v[4:5]
	v_mul_f64 v[6:7], v[70:71], v[6:7]
	v_mul_f64 v[8:9], v[36:37], v[6:7]
	v_mul_f64 v[8:9], v[230:231], v[8:9]
	s_waitcnt lgkmcnt(0)
	v_fmac_f64_e32 v[84:85], v[8:9], v[10:11]
	ds_read_b64 v[10:11], v127 offset:648
	v_mul_f64 v[8:9], v[32:33], v[6:7]
	v_mul_f64 v[8:9], v[244:245], v[8:9]
	s_waitcnt lgkmcnt(0)
	v_fmac_f64_e32 v[84:85], v[8:9], v[10:11]
	ds_read_b64 v[10:11], v127 offset:656
	v_mul_f64 v[8:9], v[26:27], v[6:7]
	v_mul_f64 v[8:9], v[240:241], v[8:9]
	s_waitcnt lgkmcnt(0)
	v_fmac_f64_e32 v[84:85], v[8:9], v[10:11]
	ds_read_b64 v[10:11], v127 offset:664
	v_mul_f64 v[8:9], v[22:23], v[6:7]
	v_mul_f64 v[8:9], v[248:249], v[8:9]
	v_mul_f64 v[6:7], v[18:19], v[6:7]
	v_mul_f64 v[6:7], v[120:121], v[6:7]
	s_waitcnt lgkmcnt(0)
	v_fmac_f64_e32 v[84:85], v[8:9], v[10:11]
	ds_read_b64 v[8:9], v127 offset:672
	ds_read_b64 v[10:11], v127 offset:680
	s_waitcnt lgkmcnt(1)
	v_fmac_f64_e32 v[84:85], v[6:7], v[8:9]
	v_mul_f64 v[6:7], v[56:57], v[4:5]
	v_mul_f64 v[6:7], v[62:63], v[6:7]
	v_mul_f64 v[8:9], v[36:37], v[6:7]
	v_mul_f64 v[8:9], v[230:231], v[8:9]
	;; [unrolled: 27-line block ×3, first 2 shown]
	s_waitcnt lgkmcnt(0)
	v_fmac_f64_e32 v[84:85], v[8:9], v[10:11]
	ds_read_b64 v[10:11], v127 offset:728
	v_mul_f64 v[8:9], v[32:33], v[6:7]
	v_mul_f64 v[8:9], v[244:245], v[8:9]
	;; [unrolled: 1-line block ×4, first 2 shown]
	s_waitcnt lgkmcnt(0)
	v_fmac_f64_e32 v[84:85], v[8:9], v[10:11]
	ds_read_b64 v[10:11], v127 offset:736
	v_mul_f64 v[8:9], v[26:27], v[6:7]
	v_mul_f64 v[8:9], v[240:241], v[8:9]
	s_waitcnt lgkmcnt(0)
	v_fmac_f64_e32 v[84:85], v[8:9], v[10:11]
	ds_read_b64 v[10:11], v127 offset:744
	v_mul_f64 v[8:9], v[22:23], v[6:7]
	v_mul_f64 v[8:9], v[248:249], v[8:9]
	;; [unrolled: 1-line block ×4, first 2 shown]
	s_waitcnt lgkmcnt(0)
	v_fmac_f64_e32 v[84:85], v[8:9], v[10:11]
	ds_read_b64 v[8:9], v127 offset:752
	s_waitcnt lgkmcnt(0)
	v_fmac_f64_e32 v[84:85], v[6:7], v[8:9]
	ds_read_b64 v[8:9], v127 offset:760
	v_mul_f64 v[6:7], v[36:37], v[4:5]
	v_mul_f64 v[6:7], v[230:231], v[6:7]
	s_waitcnt lgkmcnt(0)
	v_fmac_f64_e32 v[84:85], v[6:7], v[8:9]
	ds_read_b64 v[8:9], v127 offset:768
	v_mul_f64 v[6:7], v[32:33], v[4:5]
	v_mul_f64 v[6:7], v[244:245], v[6:7]
	;; [unrolled: 5-line block ×4, first 2 shown]
	v_mul_f64 v[4:5], v[18:19], v[4:5]
	v_mul_f64 v[4:5], v[120:121], v[4:5]
	s_waitcnt lgkmcnt(0)
	v_fmac_f64_e32 v[84:85], v[6:7], v[8:9]
	ds_read_b64 v[6:7], v127 offset:792
	s_waitcnt lgkmcnt(0)
	v_fmac_f64_e32 v[84:85], v[4:5], v[6:7]
	ds_read_b64 v[4:5], v126 offset:128
	ds_read_b64 v[6:7], v252 offset:128
	ds_read_b64 v[10:11], v127 offset:800
	s_waitcnt lgkmcnt(1)
	v_mul_f64 v[4:5], v[4:5], v[6:7]
	v_mul_f64 v[6:7], v[78:79], v[4:5]
	;; [unrolled: 1-line block ×5, first 2 shown]
	s_waitcnt lgkmcnt(0)
	v_fmac_f64_e32 v[84:85], v[10:11], v[8:9]
	ds_read_b64 v[10:11], v127 offset:808
	v_mul_f64 v[8:9], v[32:33], v[6:7]
	v_mul_f64 v[8:9], v[244:245], v[8:9]
	s_waitcnt lgkmcnt(0)
	v_fmac_f64_e32 v[84:85], v[10:11], v[8:9]
	ds_read_b64 v[10:11], v127 offset:816
	v_mul_f64 v[8:9], v[26:27], v[6:7]
	v_mul_f64 v[8:9], v[240:241], v[8:9]
	s_waitcnt lgkmcnt(0)
	v_fmac_f64_e32 v[84:85], v[10:11], v[8:9]
	ds_read_b64 v[10:11], v127 offset:824
	v_mul_f64 v[8:9], v[22:23], v[6:7]
	v_mul_f64 v[8:9], v[248:249], v[8:9]
	v_mul_f64 v[6:7], v[18:19], v[6:7]
	v_mul_f64 v[6:7], v[120:121], v[6:7]
	s_waitcnt lgkmcnt(0)
	v_fmac_f64_e32 v[84:85], v[10:11], v[8:9]
	ds_read_b64 v[8:9], v127 offset:832
	ds_read_b64 v[10:11], v127 offset:840
	s_waitcnt lgkmcnt(1)
	v_fmac_f64_e32 v[84:85], v[6:7], v[8:9]
	v_mul_f64 v[6:7], v[66:67], v[4:5]
	v_mul_f64 v[6:7], v[70:71], v[6:7]
	v_mul_f64 v[8:9], v[36:37], v[6:7]
	v_mul_f64 v[8:9], v[230:231], v[8:9]
	s_waitcnt lgkmcnt(0)
	v_fmac_f64_e32 v[84:85], v[8:9], v[10:11]
	ds_read_b64 v[10:11], v127 offset:848
	v_mul_f64 v[8:9], v[32:33], v[6:7]
	v_mul_f64 v[8:9], v[244:245], v[8:9]
	s_waitcnt lgkmcnt(0)
	v_fmac_f64_e32 v[84:85], v[8:9], v[10:11]
	ds_read_b64 v[10:11], v127 offset:856
	v_mul_f64 v[8:9], v[26:27], v[6:7]
	v_mul_f64 v[8:9], v[240:241], v[8:9]
	s_waitcnt lgkmcnt(0)
	v_fmac_f64_e32 v[84:85], v[8:9], v[10:11]
	ds_read_b64 v[10:11], v127 offset:864
	v_mul_f64 v[8:9], v[22:23], v[6:7]
	v_mul_f64 v[8:9], v[248:249], v[8:9]
	v_mul_f64 v[6:7], v[18:19], v[6:7]
	v_mul_f64 v[6:7], v[120:121], v[6:7]
	s_waitcnt lgkmcnt(0)
	v_fmac_f64_e32 v[84:85], v[8:9], v[10:11]
	ds_read_b64 v[8:9], v127 offset:872
	ds_read_b64 v[10:11], v127 offset:880
	s_waitcnt lgkmcnt(1)
	v_fmac_f64_e32 v[84:85], v[6:7], v[8:9]
	v_mul_f64 v[6:7], v[56:57], v[4:5]
	v_mul_f64 v[6:7], v[62:63], v[6:7]
	v_mul_f64 v[8:9], v[36:37], v[6:7]
	v_mul_f64 v[8:9], v[230:231], v[8:9]
	;; [unrolled: 27-line block ×3, first 2 shown]
	s_waitcnt lgkmcnt(0)
	v_fmac_f64_e32 v[84:85], v[8:9], v[10:11]
	ds_read_b64 v[10:11], v127 offset:928
	v_mul_f64 v[8:9], v[32:33], v[6:7]
	v_mul_f64 v[8:9], v[244:245], v[8:9]
	;; [unrolled: 1-line block ×4, first 2 shown]
	s_waitcnt lgkmcnt(0)
	v_fmac_f64_e32 v[84:85], v[8:9], v[10:11]
	ds_read_b64 v[10:11], v127 offset:936
	v_mul_f64 v[8:9], v[26:27], v[6:7]
	v_mul_f64 v[8:9], v[240:241], v[8:9]
	s_waitcnt lgkmcnt(0)
	v_fmac_f64_e32 v[84:85], v[8:9], v[10:11]
	ds_read_b64 v[10:11], v127 offset:944
	v_mul_f64 v[8:9], v[22:23], v[6:7]
	v_mul_f64 v[8:9], v[248:249], v[8:9]
	;; [unrolled: 1-line block ×4, first 2 shown]
	s_waitcnt lgkmcnt(0)
	v_fmac_f64_e32 v[84:85], v[8:9], v[10:11]
	ds_read_b64 v[8:9], v127 offset:952
	s_waitcnt lgkmcnt(0)
	v_fmac_f64_e32 v[84:85], v[6:7], v[8:9]
	ds_read_b64 v[8:9], v127 offset:960
	v_mul_f64 v[6:7], v[36:37], v[4:5]
	v_mul_f64 v[6:7], v[230:231], v[6:7]
	s_waitcnt lgkmcnt(0)
	v_fmac_f64_e32 v[84:85], v[6:7], v[8:9]
	ds_read_b64 v[8:9], v127 offset:968
	v_mul_f64 v[6:7], v[32:33], v[4:5]
	v_mul_f64 v[6:7], v[244:245], v[6:7]
	;; [unrolled: 5-line block ×4, first 2 shown]
	v_mul_f64 v[4:5], v[18:19], v[4:5]
	v_mul_f64 v[4:5], v[120:121], v[4:5]
	s_waitcnt lgkmcnt(0)
	v_fmac_f64_e32 v[84:85], v[6:7], v[8:9]
	ds_read_b64 v[6:7], v127 offset:992
	s_waitcnt lgkmcnt(0)
	v_fmac_f64_e32 v[84:85], v[4:5], v[6:7]
	global_store_dwordx2 v[192:193], v[84:85], off offset:2048
	ds_read_b64 v[36:37], v125
	ds_read_b128 v[224:227], v127 offset:1024
	ds_read_b64 v[32:33], v125 offset:32
	ds_read_b128 v[220:223], v127 offset:1056
	ds_read_b64 v[26:27], v125 offset:64
	;; [unrolled: 2-line block ×4, first 2 shown]
	ds_read_b128 v[120:123], v127 offset:1152
	ds_read_b64 v[74:75], v124
	ds_read_b64 v[78:79], v127 offset:1016
	ds_read_b64 v[66:67], v124 offset:32
	;; [unrolled: 1-line block ×9, first 2 shown]
	ds_read_b64 v[4:5], v126
	ds_read_b64 v[6:7], v126 offset:32
	ds_read_b64 v[8:9], v252
	ds_read_b64 v[10:11], v252 offset:32
	;; [unrolled: 2-line block ×3, first 2 shown]
	ds_read_b64 v[30:31], v127 offset:16
	ds_read_b64 v[88:89], v127 offset:24
	;; [unrolled: 1-line block ×6, first 2 shown]
	s_waitcnt lgkmcnt(9)
	v_mul_f64 v[4:5], v[4:5], v[8:9]
	v_mul_f64 v[8:9], v[74:75], v[4:5]
	;; [unrolled: 1-line block ×5, first 2 shown]
	s_waitcnt lgkmcnt(7)
	v_fma_f64 v[84:85], v[14:15], v[12:13], 0
	v_mul_f64 v[12:13], v[32:33], v[8:9]
	v_mul_f64 v[12:13], v[222:223], v[12:13]
	s_waitcnt lgkmcnt(6)
	v_fmac_f64_e32 v[84:85], v[28:29], v[12:13]
	v_mul_f64 v[12:13], v[26:27], v[8:9]
	v_mul_f64 v[12:13], v[236:237], v[12:13]
	s_waitcnt lgkmcnt(5)
	v_fmac_f64_e32 v[84:85], v[30:31], v[12:13]
	v_mul_f64 v[12:13], v[22:23], v[8:9]
	v_mul_f64 v[12:13], v[232:233], v[12:13]
	;; [unrolled: 1-line block ×3, first 2 shown]
	s_waitcnt lgkmcnt(4)
	v_fmac_f64_e32 v[84:85], v[88:89], v[12:13]
	v_mul_f64 v[8:9], v[122:123], v[8:9]
	s_waitcnt lgkmcnt(3)
	v_fmac_f64_e32 v[84:85], v[8:9], v[92:93]
	v_mul_f64 v[8:9], v[66:67], v[4:5]
	v_mul_f64 v[8:9], v[70:71], v[8:9]
	;; [unrolled: 1-line block ×4, first 2 shown]
	s_waitcnt lgkmcnt(2)
	v_fmac_f64_e32 v[84:85], v[12:13], v[96:97]
	v_mul_f64 v[12:13], v[32:33], v[8:9]
	v_mul_f64 v[12:13], v[222:223], v[12:13]
	ds_read_b64 v[14:15], v127 offset:64
	s_waitcnt lgkmcnt(2)
	v_fmac_f64_e32 v[84:85], v[12:13], v[98:99]
	v_mul_f64 v[12:13], v[26:27], v[8:9]
	v_mul_f64 v[12:13], v[236:237], v[12:13]
	s_waitcnt lgkmcnt(1)
	v_fmac_f64_e32 v[84:85], v[12:13], v[100:101]
	v_mul_f64 v[12:13], v[22:23], v[8:9]
	v_mul_f64 v[12:13], v[232:233], v[12:13]
	s_waitcnt lgkmcnt(0)
	v_fmac_f64_e32 v[84:85], v[12:13], v[14:15]
	ds_read_b64 v[12:13], v127 offset:72
	ds_read_b64 v[14:15], v127 offset:80
	v_mul_f64 v[8:9], v[18:19], v[8:9]
	v_mul_f64 v[8:9], v[122:123], v[8:9]
	s_waitcnt lgkmcnt(1)
	v_fmac_f64_e32 v[84:85], v[8:9], v[12:13]
	v_mul_f64 v[8:9], v[56:57], v[4:5]
	v_mul_f64 v[8:9], v[62:63], v[8:9]
	;; [unrolled: 1-line block ×4, first 2 shown]
	s_waitcnt lgkmcnt(0)
	v_fmac_f64_e32 v[84:85], v[12:13], v[14:15]
	ds_read_b64 v[14:15], v127 offset:88
	v_mul_f64 v[12:13], v[32:33], v[8:9]
	v_mul_f64 v[12:13], v[222:223], v[12:13]
	s_waitcnt lgkmcnt(0)
	v_fmac_f64_e32 v[84:85], v[12:13], v[14:15]
	ds_read_b64 v[14:15], v127 offset:96
	v_mul_f64 v[12:13], v[26:27], v[8:9]
	v_mul_f64 v[12:13], v[236:237], v[12:13]
	;; [unrolled: 5-line block ×3, first 2 shown]
	v_mul_f64 v[8:9], v[18:19], v[8:9]
	v_mul_f64 v[8:9], v[122:123], v[8:9]
	s_waitcnt lgkmcnt(0)
	v_fmac_f64_e32 v[84:85], v[12:13], v[14:15]
	ds_read_b64 v[12:13], v127 offset:112
	ds_read_b64 v[14:15], v127 offset:120
	s_waitcnt lgkmcnt(1)
	v_fmac_f64_e32 v[84:85], v[8:9], v[12:13]
	v_mul_f64 v[8:9], v[48:49], v[4:5]
	v_mul_f64 v[8:9], v[52:53], v[8:9]
	;; [unrolled: 1-line block ×4, first 2 shown]
	s_waitcnt lgkmcnt(0)
	v_fmac_f64_e32 v[84:85], v[12:13], v[14:15]
	ds_read_b64 v[14:15], v127 offset:128
	v_mul_f64 v[12:13], v[32:33], v[8:9]
	v_mul_f64 v[12:13], v[222:223], v[12:13]
	;; [unrolled: 1-line block ×4, first 2 shown]
	s_waitcnt lgkmcnt(0)
	v_fmac_f64_e32 v[84:85], v[12:13], v[14:15]
	ds_read_b64 v[14:15], v127 offset:136
	v_mul_f64 v[12:13], v[26:27], v[8:9]
	v_mul_f64 v[12:13], v[236:237], v[12:13]
	s_waitcnt lgkmcnt(0)
	v_fmac_f64_e32 v[84:85], v[12:13], v[14:15]
	ds_read_b64 v[14:15], v127 offset:144
	v_mul_f64 v[12:13], v[22:23], v[8:9]
	v_mul_f64 v[12:13], v[232:233], v[12:13]
	;; [unrolled: 1-line block ×4, first 2 shown]
	s_waitcnt lgkmcnt(0)
	v_fmac_f64_e32 v[84:85], v[12:13], v[14:15]
	ds_read_b64 v[12:13], v127 offset:152
	s_waitcnt lgkmcnt(0)
	v_fmac_f64_e32 v[84:85], v[8:9], v[12:13]
	ds_read_b64 v[12:13], v127 offset:160
	v_mul_f64 v[8:9], v[36:37], v[4:5]
	v_mul_f64 v[8:9], v[226:227], v[8:9]
	s_waitcnt lgkmcnt(0)
	v_fmac_f64_e32 v[84:85], v[8:9], v[12:13]
	ds_read_b64 v[12:13], v127 offset:168
	v_mul_f64 v[8:9], v[32:33], v[4:5]
	v_mul_f64 v[8:9], v[222:223], v[8:9]
	;; [unrolled: 5-line block ×4, first 2 shown]
	v_mul_f64 v[4:5], v[18:19], v[4:5]
	v_mul_f64 v[4:5], v[122:123], v[4:5]
	s_waitcnt lgkmcnt(0)
	v_fmac_f64_e32 v[84:85], v[8:9], v[12:13]
	ds_read_b64 v[8:9], v127 offset:192
	s_waitcnt lgkmcnt(0)
	v_fmac_f64_e32 v[84:85], v[4:5], v[8:9]
	v_mul_f64 v[4:5], v[6:7], v[10:11]
	ds_read_b64 v[10:11], v127 offset:200
	v_mul_f64 v[6:7], v[74:75], v[4:5]
	v_mul_f64 v[6:7], v[78:79], v[6:7]
	v_mul_f64 v[8:9], v[36:37], v[6:7]
	v_mul_f64 v[8:9], v[226:227], v[8:9]
	s_waitcnt lgkmcnt(0)
	v_fmac_f64_e32 v[84:85], v[10:11], v[8:9]
	ds_read_b64 v[10:11], v127 offset:208
	v_mul_f64 v[8:9], v[32:33], v[6:7]
	v_mul_f64 v[8:9], v[222:223], v[8:9]
	s_waitcnt lgkmcnt(0)
	v_fmac_f64_e32 v[84:85], v[10:11], v[8:9]
	ds_read_b64 v[10:11], v127 offset:216
	v_mul_f64 v[8:9], v[26:27], v[6:7]
	v_mul_f64 v[8:9], v[236:237], v[8:9]
	s_waitcnt lgkmcnt(0)
	v_fmac_f64_e32 v[84:85], v[10:11], v[8:9]
	ds_read_b64 v[10:11], v127 offset:224
	v_mul_f64 v[8:9], v[22:23], v[6:7]
	v_mul_f64 v[8:9], v[232:233], v[8:9]
	v_mul_f64 v[6:7], v[18:19], v[6:7]
	v_mul_f64 v[6:7], v[122:123], v[6:7]
	s_waitcnt lgkmcnt(0)
	v_fmac_f64_e32 v[84:85], v[10:11], v[8:9]
	ds_read_b64 v[8:9], v127 offset:232
	ds_read_b64 v[10:11], v127 offset:240
	s_waitcnt lgkmcnt(1)
	v_fmac_f64_e32 v[84:85], v[6:7], v[8:9]
	v_mul_f64 v[6:7], v[66:67], v[4:5]
	v_mul_f64 v[6:7], v[70:71], v[6:7]
	v_mul_f64 v[8:9], v[36:37], v[6:7]
	v_mul_f64 v[8:9], v[226:227], v[8:9]
	s_waitcnt lgkmcnt(0)
	v_fmac_f64_e32 v[84:85], v[8:9], v[10:11]
	ds_read_b64 v[10:11], v127 offset:248
	v_mul_f64 v[8:9], v[32:33], v[6:7]
	v_mul_f64 v[8:9], v[222:223], v[8:9]
	s_waitcnt lgkmcnt(0)
	v_fmac_f64_e32 v[84:85], v[8:9], v[10:11]
	ds_read_b64 v[10:11], v127 offset:256
	v_mul_f64 v[8:9], v[26:27], v[6:7]
	v_mul_f64 v[8:9], v[236:237], v[8:9]
	s_waitcnt lgkmcnt(0)
	v_fmac_f64_e32 v[84:85], v[8:9], v[10:11]
	ds_read_b64 v[10:11], v127 offset:264
	v_mul_f64 v[8:9], v[22:23], v[6:7]
	v_mul_f64 v[8:9], v[232:233], v[8:9]
	v_mul_f64 v[6:7], v[18:19], v[6:7]
	v_mul_f64 v[6:7], v[122:123], v[6:7]
	s_waitcnt lgkmcnt(0)
	v_fmac_f64_e32 v[84:85], v[8:9], v[10:11]
	ds_read_b64 v[8:9], v127 offset:272
	ds_read_b64 v[10:11], v127 offset:280
	s_waitcnt lgkmcnt(1)
	v_fmac_f64_e32 v[84:85], v[6:7], v[8:9]
	v_mul_f64 v[6:7], v[56:57], v[4:5]
	v_mul_f64 v[6:7], v[62:63], v[6:7]
	v_mul_f64 v[8:9], v[36:37], v[6:7]
	v_mul_f64 v[8:9], v[226:227], v[8:9]
	s_waitcnt lgkmcnt(0)
	v_fmac_f64_e32 v[84:85], v[8:9], v[10:11]
	ds_read_b64 v[10:11], v127 offset:288
	v_mul_f64 v[8:9], v[32:33], v[6:7]
	v_mul_f64 v[8:9], v[222:223], v[8:9]
	s_waitcnt lgkmcnt(0)
	v_fmac_f64_e32 v[84:85], v[8:9], v[10:11]
	ds_read_b64 v[10:11], v127 offset:296
	v_mul_f64 v[8:9], v[26:27], v[6:7]
	v_mul_f64 v[8:9], v[236:237], v[8:9]
	s_waitcnt lgkmcnt(0)
	v_fmac_f64_e32 v[84:85], v[8:9], v[10:11]
	ds_read_b64 v[10:11], v127 offset:304
	v_mul_f64 v[8:9], v[22:23], v[6:7]
	v_mul_f64 v[8:9], v[232:233], v[8:9]
	v_mul_f64 v[6:7], v[18:19], v[6:7]
	v_mul_f64 v[6:7], v[122:123], v[6:7]
	s_waitcnt lgkmcnt(0)
	v_fmac_f64_e32 v[84:85], v[8:9], v[10:11]
	ds_read_b64 v[8:9], v127 offset:312
	ds_read_b64 v[10:11], v127 offset:320
	s_waitcnt lgkmcnt(1)
	v_fmac_f64_e32 v[84:85], v[6:7], v[8:9]
	v_mul_f64 v[6:7], v[48:49], v[4:5]
	v_mul_f64 v[6:7], v[52:53], v[6:7]
	;; [unrolled: 1-line block ×4, first 2 shown]
	s_waitcnt lgkmcnt(0)
	v_fmac_f64_e32 v[84:85], v[8:9], v[10:11]
	ds_read_b64 v[10:11], v127 offset:328
	v_mul_f64 v[8:9], v[32:33], v[6:7]
	v_mul_f64 v[8:9], v[222:223], v[8:9]
	;; [unrolled: 1-line block ×4, first 2 shown]
	s_waitcnt lgkmcnt(0)
	v_fmac_f64_e32 v[84:85], v[8:9], v[10:11]
	ds_read_b64 v[10:11], v127 offset:336
	v_mul_f64 v[8:9], v[26:27], v[6:7]
	v_mul_f64 v[8:9], v[236:237], v[8:9]
	s_waitcnt lgkmcnt(0)
	v_fmac_f64_e32 v[84:85], v[8:9], v[10:11]
	ds_read_b64 v[10:11], v127 offset:344
	v_mul_f64 v[8:9], v[22:23], v[6:7]
	v_mul_f64 v[8:9], v[232:233], v[8:9]
	;; [unrolled: 1-line block ×4, first 2 shown]
	s_waitcnt lgkmcnt(0)
	v_fmac_f64_e32 v[84:85], v[8:9], v[10:11]
	ds_read_b64 v[8:9], v127 offset:352
	s_waitcnt lgkmcnt(0)
	v_fmac_f64_e32 v[84:85], v[6:7], v[8:9]
	ds_read_b64 v[8:9], v127 offset:360
	v_mul_f64 v[6:7], v[36:37], v[4:5]
	v_mul_f64 v[6:7], v[226:227], v[6:7]
	s_waitcnt lgkmcnt(0)
	v_fmac_f64_e32 v[84:85], v[6:7], v[8:9]
	ds_read_b64 v[8:9], v127 offset:368
	v_mul_f64 v[6:7], v[32:33], v[4:5]
	v_mul_f64 v[6:7], v[222:223], v[6:7]
	;; [unrolled: 5-line block ×4, first 2 shown]
	v_mul_f64 v[4:5], v[18:19], v[4:5]
	v_mul_f64 v[4:5], v[122:123], v[4:5]
	s_waitcnt lgkmcnt(0)
	v_fmac_f64_e32 v[84:85], v[6:7], v[8:9]
	ds_read_b64 v[6:7], v127 offset:392
	s_waitcnt lgkmcnt(0)
	v_fmac_f64_e32 v[84:85], v[4:5], v[6:7]
	ds_read_b64 v[4:5], v126 offset:64
	ds_read_b64 v[6:7], v252 offset:64
	;; [unrolled: 1-line block ×3, first 2 shown]
	s_waitcnt lgkmcnt(1)
	v_mul_f64 v[4:5], v[4:5], v[6:7]
	v_mul_f64 v[6:7], v[74:75], v[4:5]
	;; [unrolled: 1-line block ×5, first 2 shown]
	s_waitcnt lgkmcnt(0)
	v_fmac_f64_e32 v[84:85], v[10:11], v[8:9]
	ds_read_b64 v[10:11], v127 offset:408
	v_mul_f64 v[8:9], v[32:33], v[6:7]
	v_mul_f64 v[8:9], v[222:223], v[8:9]
	s_waitcnt lgkmcnt(0)
	v_fmac_f64_e32 v[84:85], v[10:11], v[8:9]
	ds_read_b64 v[10:11], v127 offset:416
	v_mul_f64 v[8:9], v[26:27], v[6:7]
	v_mul_f64 v[8:9], v[236:237], v[8:9]
	s_waitcnt lgkmcnt(0)
	v_fmac_f64_e32 v[84:85], v[10:11], v[8:9]
	ds_read_b64 v[10:11], v127 offset:424
	v_mul_f64 v[8:9], v[22:23], v[6:7]
	v_mul_f64 v[8:9], v[232:233], v[8:9]
	v_mul_f64 v[6:7], v[18:19], v[6:7]
	v_mul_f64 v[6:7], v[122:123], v[6:7]
	s_waitcnt lgkmcnt(0)
	v_fmac_f64_e32 v[84:85], v[10:11], v[8:9]
	ds_read_b64 v[8:9], v127 offset:432
	ds_read_b64 v[10:11], v127 offset:440
	s_waitcnt lgkmcnt(1)
	v_fmac_f64_e32 v[84:85], v[6:7], v[8:9]
	v_mul_f64 v[6:7], v[66:67], v[4:5]
	v_mul_f64 v[6:7], v[70:71], v[6:7]
	v_mul_f64 v[8:9], v[36:37], v[6:7]
	v_mul_f64 v[8:9], v[226:227], v[8:9]
	s_waitcnt lgkmcnt(0)
	v_fmac_f64_e32 v[84:85], v[8:9], v[10:11]
	ds_read_b64 v[10:11], v127 offset:448
	v_mul_f64 v[8:9], v[32:33], v[6:7]
	v_mul_f64 v[8:9], v[222:223], v[8:9]
	s_waitcnt lgkmcnt(0)
	v_fmac_f64_e32 v[84:85], v[8:9], v[10:11]
	ds_read_b64 v[10:11], v127 offset:456
	v_mul_f64 v[8:9], v[26:27], v[6:7]
	v_mul_f64 v[8:9], v[236:237], v[8:9]
	s_waitcnt lgkmcnt(0)
	v_fmac_f64_e32 v[84:85], v[8:9], v[10:11]
	ds_read_b64 v[10:11], v127 offset:464
	v_mul_f64 v[8:9], v[22:23], v[6:7]
	v_mul_f64 v[8:9], v[232:233], v[8:9]
	v_mul_f64 v[6:7], v[18:19], v[6:7]
	v_mul_f64 v[6:7], v[122:123], v[6:7]
	s_waitcnt lgkmcnt(0)
	v_fmac_f64_e32 v[84:85], v[8:9], v[10:11]
	ds_read_b64 v[8:9], v127 offset:472
	ds_read_b64 v[10:11], v127 offset:480
	s_waitcnt lgkmcnt(1)
	v_fmac_f64_e32 v[84:85], v[6:7], v[8:9]
	v_mul_f64 v[6:7], v[56:57], v[4:5]
	v_mul_f64 v[6:7], v[62:63], v[6:7]
	v_mul_f64 v[8:9], v[36:37], v[6:7]
	v_mul_f64 v[8:9], v[226:227], v[8:9]
	;; [unrolled: 27-line block ×3, first 2 shown]
	s_waitcnt lgkmcnt(0)
	v_fmac_f64_e32 v[84:85], v[8:9], v[10:11]
	ds_read_b64 v[10:11], v127 offset:528
	v_mul_f64 v[8:9], v[32:33], v[6:7]
	v_mul_f64 v[8:9], v[222:223], v[8:9]
	;; [unrolled: 1-line block ×4, first 2 shown]
	s_waitcnt lgkmcnt(0)
	v_fmac_f64_e32 v[84:85], v[8:9], v[10:11]
	ds_read_b64 v[10:11], v127 offset:536
	v_mul_f64 v[8:9], v[26:27], v[6:7]
	v_mul_f64 v[8:9], v[236:237], v[8:9]
	s_waitcnt lgkmcnt(0)
	v_fmac_f64_e32 v[84:85], v[8:9], v[10:11]
	ds_read_b64 v[10:11], v127 offset:544
	v_mul_f64 v[8:9], v[22:23], v[6:7]
	v_mul_f64 v[8:9], v[232:233], v[8:9]
	;; [unrolled: 1-line block ×4, first 2 shown]
	s_waitcnt lgkmcnt(0)
	v_fmac_f64_e32 v[84:85], v[8:9], v[10:11]
	ds_read_b64 v[8:9], v127 offset:552
	s_waitcnt lgkmcnt(0)
	v_fmac_f64_e32 v[84:85], v[6:7], v[8:9]
	ds_read_b64 v[8:9], v127 offset:560
	v_mul_f64 v[6:7], v[36:37], v[4:5]
	v_mul_f64 v[6:7], v[226:227], v[6:7]
	s_waitcnt lgkmcnt(0)
	v_fmac_f64_e32 v[84:85], v[6:7], v[8:9]
	ds_read_b64 v[8:9], v127 offset:568
	v_mul_f64 v[6:7], v[32:33], v[4:5]
	v_mul_f64 v[6:7], v[222:223], v[6:7]
	;; [unrolled: 5-line block ×4, first 2 shown]
	v_mul_f64 v[4:5], v[18:19], v[4:5]
	v_mul_f64 v[4:5], v[122:123], v[4:5]
	s_waitcnt lgkmcnt(0)
	v_fmac_f64_e32 v[84:85], v[6:7], v[8:9]
	ds_read_b64 v[6:7], v127 offset:592
	s_waitcnt lgkmcnt(0)
	v_fmac_f64_e32 v[84:85], v[4:5], v[6:7]
	ds_read_b64 v[4:5], v126 offset:96
	ds_read_b64 v[6:7], v252 offset:96
	;; [unrolled: 1-line block ×3, first 2 shown]
	s_waitcnt lgkmcnt(1)
	v_mul_f64 v[4:5], v[4:5], v[6:7]
	v_mul_f64 v[6:7], v[74:75], v[4:5]
	;; [unrolled: 1-line block ×5, first 2 shown]
	s_waitcnt lgkmcnt(0)
	v_fmac_f64_e32 v[84:85], v[10:11], v[8:9]
	ds_read_b64 v[10:11], v127 offset:608
	v_mul_f64 v[8:9], v[32:33], v[6:7]
	v_mul_f64 v[8:9], v[222:223], v[8:9]
	s_waitcnt lgkmcnt(0)
	v_fmac_f64_e32 v[84:85], v[10:11], v[8:9]
	ds_read_b64 v[10:11], v127 offset:616
	v_mul_f64 v[8:9], v[26:27], v[6:7]
	v_mul_f64 v[8:9], v[236:237], v[8:9]
	s_waitcnt lgkmcnt(0)
	v_fmac_f64_e32 v[84:85], v[10:11], v[8:9]
	ds_read_b64 v[10:11], v127 offset:624
	v_mul_f64 v[8:9], v[22:23], v[6:7]
	v_mul_f64 v[8:9], v[232:233], v[8:9]
	v_mul_f64 v[6:7], v[18:19], v[6:7]
	v_mul_f64 v[6:7], v[122:123], v[6:7]
	s_waitcnt lgkmcnt(0)
	v_fmac_f64_e32 v[84:85], v[10:11], v[8:9]
	ds_read_b64 v[8:9], v127 offset:632
	ds_read_b64 v[10:11], v127 offset:640
	s_waitcnt lgkmcnt(1)
	v_fmac_f64_e32 v[84:85], v[6:7], v[8:9]
	v_mul_f64 v[6:7], v[66:67], v[4:5]
	v_mul_f64 v[6:7], v[70:71], v[6:7]
	v_mul_f64 v[8:9], v[36:37], v[6:7]
	v_mul_f64 v[8:9], v[226:227], v[8:9]
	s_waitcnt lgkmcnt(0)
	v_fmac_f64_e32 v[84:85], v[8:9], v[10:11]
	ds_read_b64 v[10:11], v127 offset:648
	v_mul_f64 v[8:9], v[32:33], v[6:7]
	v_mul_f64 v[8:9], v[222:223], v[8:9]
	s_waitcnt lgkmcnt(0)
	v_fmac_f64_e32 v[84:85], v[8:9], v[10:11]
	ds_read_b64 v[10:11], v127 offset:656
	v_mul_f64 v[8:9], v[26:27], v[6:7]
	v_mul_f64 v[8:9], v[236:237], v[8:9]
	s_waitcnt lgkmcnt(0)
	v_fmac_f64_e32 v[84:85], v[8:9], v[10:11]
	ds_read_b64 v[10:11], v127 offset:664
	v_mul_f64 v[8:9], v[22:23], v[6:7]
	v_mul_f64 v[8:9], v[232:233], v[8:9]
	v_mul_f64 v[6:7], v[18:19], v[6:7]
	v_mul_f64 v[6:7], v[122:123], v[6:7]
	s_waitcnt lgkmcnt(0)
	v_fmac_f64_e32 v[84:85], v[8:9], v[10:11]
	ds_read_b64 v[8:9], v127 offset:672
	ds_read_b64 v[10:11], v127 offset:680
	s_waitcnt lgkmcnt(1)
	v_fmac_f64_e32 v[84:85], v[6:7], v[8:9]
	v_mul_f64 v[6:7], v[56:57], v[4:5]
	v_mul_f64 v[6:7], v[62:63], v[6:7]
	v_mul_f64 v[8:9], v[36:37], v[6:7]
	v_mul_f64 v[8:9], v[226:227], v[8:9]
	;; [unrolled: 27-line block ×3, first 2 shown]
	s_waitcnt lgkmcnt(0)
	v_fmac_f64_e32 v[84:85], v[8:9], v[10:11]
	ds_read_b64 v[10:11], v127 offset:728
	v_mul_f64 v[8:9], v[32:33], v[6:7]
	v_mul_f64 v[8:9], v[222:223], v[8:9]
	;; [unrolled: 1-line block ×4, first 2 shown]
	s_waitcnt lgkmcnt(0)
	v_fmac_f64_e32 v[84:85], v[8:9], v[10:11]
	ds_read_b64 v[10:11], v127 offset:736
	v_mul_f64 v[8:9], v[26:27], v[6:7]
	v_mul_f64 v[8:9], v[236:237], v[8:9]
	s_waitcnt lgkmcnt(0)
	v_fmac_f64_e32 v[84:85], v[8:9], v[10:11]
	ds_read_b64 v[10:11], v127 offset:744
	v_mul_f64 v[8:9], v[22:23], v[6:7]
	v_mul_f64 v[8:9], v[232:233], v[8:9]
	;; [unrolled: 1-line block ×4, first 2 shown]
	s_waitcnt lgkmcnt(0)
	v_fmac_f64_e32 v[84:85], v[8:9], v[10:11]
	ds_read_b64 v[8:9], v127 offset:752
	s_waitcnt lgkmcnt(0)
	v_fmac_f64_e32 v[84:85], v[6:7], v[8:9]
	ds_read_b64 v[8:9], v127 offset:760
	v_mul_f64 v[6:7], v[36:37], v[4:5]
	v_mul_f64 v[6:7], v[226:227], v[6:7]
	s_waitcnt lgkmcnt(0)
	v_fmac_f64_e32 v[84:85], v[6:7], v[8:9]
	ds_read_b64 v[8:9], v127 offset:768
	v_mul_f64 v[6:7], v[32:33], v[4:5]
	v_mul_f64 v[6:7], v[222:223], v[6:7]
	s_waitcnt lgkmcnt(0)
	v_fmac_f64_e32 v[84:85], v[6:7], v[8:9]
	ds_read_b64 v[8:9], v127 offset:776
	v_mul_f64 v[6:7], v[26:27], v[4:5]
	v_mul_f64 v[6:7], v[236:237], v[6:7]
	s_waitcnt lgkmcnt(0)
	v_fmac_f64_e32 v[84:85], v[6:7], v[8:9]
	ds_read_b64 v[8:9], v127 offset:784
	v_mul_f64 v[6:7], v[22:23], v[4:5]
	v_mul_f64 v[6:7], v[232:233], v[6:7]
	v_mul_f64 v[4:5], v[18:19], v[4:5]
	v_mul_f64 v[4:5], v[122:123], v[4:5]
	s_waitcnt lgkmcnt(0)
	v_fmac_f64_e32 v[84:85], v[6:7], v[8:9]
	ds_read_b64 v[6:7], v127 offset:792
	s_waitcnt lgkmcnt(0)
	v_fmac_f64_e32 v[84:85], v[4:5], v[6:7]
	ds_read_b64 v[4:5], v126 offset:128
	ds_read_b64 v[6:7], v252 offset:128
	ds_read_b64 v[10:11], v127 offset:800
	s_waitcnt lgkmcnt(1)
	v_mul_f64 v[4:5], v[4:5], v[6:7]
	v_mul_f64 v[6:7], v[74:75], v[4:5]
	;; [unrolled: 1-line block ×5, first 2 shown]
	s_waitcnt lgkmcnt(0)
	v_fmac_f64_e32 v[84:85], v[10:11], v[8:9]
	ds_read_b64 v[10:11], v127 offset:808
	v_mul_f64 v[8:9], v[32:33], v[6:7]
	v_mul_f64 v[8:9], v[222:223], v[8:9]
	s_waitcnt lgkmcnt(0)
	v_fmac_f64_e32 v[84:85], v[10:11], v[8:9]
	ds_read_b64 v[10:11], v127 offset:816
	v_mul_f64 v[8:9], v[26:27], v[6:7]
	v_mul_f64 v[8:9], v[236:237], v[8:9]
	s_waitcnt lgkmcnt(0)
	v_fmac_f64_e32 v[84:85], v[10:11], v[8:9]
	ds_read_b64 v[10:11], v127 offset:824
	v_mul_f64 v[8:9], v[22:23], v[6:7]
	v_mul_f64 v[8:9], v[232:233], v[8:9]
	v_mul_f64 v[6:7], v[18:19], v[6:7]
	v_mul_f64 v[6:7], v[122:123], v[6:7]
	s_waitcnt lgkmcnt(0)
	v_fmac_f64_e32 v[84:85], v[10:11], v[8:9]
	ds_read_b64 v[8:9], v127 offset:832
	ds_read_b64 v[10:11], v127 offset:840
	s_waitcnt lgkmcnt(1)
	v_fmac_f64_e32 v[84:85], v[6:7], v[8:9]
	v_mul_f64 v[6:7], v[66:67], v[4:5]
	v_mul_f64 v[6:7], v[70:71], v[6:7]
	v_mul_f64 v[8:9], v[36:37], v[6:7]
	v_mul_f64 v[8:9], v[226:227], v[8:9]
	s_waitcnt lgkmcnt(0)
	v_fmac_f64_e32 v[84:85], v[8:9], v[10:11]
	ds_read_b64 v[10:11], v127 offset:848
	v_mul_f64 v[8:9], v[32:33], v[6:7]
	v_mul_f64 v[8:9], v[222:223], v[8:9]
	s_waitcnt lgkmcnt(0)
	v_fmac_f64_e32 v[84:85], v[8:9], v[10:11]
	ds_read_b64 v[10:11], v127 offset:856
	v_mul_f64 v[8:9], v[26:27], v[6:7]
	v_mul_f64 v[8:9], v[236:237], v[8:9]
	s_waitcnt lgkmcnt(0)
	v_fmac_f64_e32 v[84:85], v[8:9], v[10:11]
	ds_read_b64 v[10:11], v127 offset:864
	v_mul_f64 v[8:9], v[22:23], v[6:7]
	v_mul_f64 v[8:9], v[232:233], v[8:9]
	v_mul_f64 v[6:7], v[18:19], v[6:7]
	v_mul_f64 v[6:7], v[122:123], v[6:7]
	s_waitcnt lgkmcnt(0)
	v_fmac_f64_e32 v[84:85], v[8:9], v[10:11]
	ds_read_b64 v[8:9], v127 offset:872
	ds_read_b64 v[10:11], v127 offset:880
	s_waitcnt lgkmcnt(1)
	v_fmac_f64_e32 v[84:85], v[6:7], v[8:9]
	v_mul_f64 v[6:7], v[56:57], v[4:5]
	v_mul_f64 v[6:7], v[62:63], v[6:7]
	v_mul_f64 v[8:9], v[36:37], v[6:7]
	v_mul_f64 v[8:9], v[226:227], v[8:9]
	;; [unrolled: 27-line block ×3, first 2 shown]
	s_waitcnt lgkmcnt(0)
	v_fmac_f64_e32 v[84:85], v[8:9], v[10:11]
	ds_read_b64 v[10:11], v127 offset:928
	v_mul_f64 v[8:9], v[32:33], v[6:7]
	v_mul_f64 v[8:9], v[222:223], v[8:9]
	;; [unrolled: 1-line block ×4, first 2 shown]
	s_waitcnt lgkmcnt(0)
	v_fmac_f64_e32 v[84:85], v[8:9], v[10:11]
	ds_read_b64 v[10:11], v127 offset:936
	v_mul_f64 v[8:9], v[26:27], v[6:7]
	v_mul_f64 v[8:9], v[236:237], v[8:9]
	s_waitcnt lgkmcnt(0)
	v_fmac_f64_e32 v[84:85], v[8:9], v[10:11]
	ds_read_b64 v[10:11], v127 offset:944
	v_mul_f64 v[8:9], v[22:23], v[6:7]
	v_mul_f64 v[8:9], v[232:233], v[8:9]
	;; [unrolled: 1-line block ×4, first 2 shown]
	s_waitcnt lgkmcnt(0)
	v_fmac_f64_e32 v[84:85], v[8:9], v[10:11]
	ds_read_b64 v[8:9], v127 offset:952
	s_waitcnt lgkmcnt(0)
	v_fmac_f64_e32 v[84:85], v[6:7], v[8:9]
	ds_read_b64 v[8:9], v127 offset:960
	v_mul_f64 v[6:7], v[36:37], v[4:5]
	v_mul_f64 v[6:7], v[226:227], v[6:7]
	s_waitcnt lgkmcnt(0)
	v_fmac_f64_e32 v[84:85], v[6:7], v[8:9]
	ds_read_b64 v[8:9], v127 offset:968
	v_mul_f64 v[6:7], v[32:33], v[4:5]
	v_mul_f64 v[6:7], v[222:223], v[6:7]
	s_waitcnt lgkmcnt(0)
	v_fmac_f64_e32 v[84:85], v[6:7], v[8:9]
	ds_read_b64 v[8:9], v127 offset:976
	v_mul_f64 v[6:7], v[26:27], v[4:5]
	v_mul_f64 v[6:7], v[236:237], v[6:7]
	s_waitcnt lgkmcnt(0)
	v_fmac_f64_e32 v[84:85], v[6:7], v[8:9]
	ds_read_b64 v[8:9], v127 offset:984
	v_mul_f64 v[6:7], v[22:23], v[4:5]
	v_mul_f64 v[6:7], v[232:233], v[6:7]
	v_mul_f64 v[4:5], v[18:19], v[4:5]
	v_mul_f64 v[4:5], v[122:123], v[4:5]
	s_waitcnt lgkmcnt(0)
	v_fmac_f64_e32 v[84:85], v[6:7], v[8:9]
	ds_read_b64 v[6:7], v127 offset:992
	s_waitcnt lgkmcnt(0)
	v_fmac_f64_e32 v[84:85], v[4:5], v[6:7]
	global_store_dwordx2 v[94:95], v[84:85], off offset:2048
	ds_read_b64 v[36:37], v125
	ds_read_b64 v[32:33], v125 offset:32
	ds_read2_b64 v[190:193], v127 offset0:129 offset1:130
	ds_read_b64 v[26:27], v125 offset:64
	ds_read2_b64 v[200:203], v127 offset0:133 offset1:134
	;; [unrolled: 2-line block ×4, first 2 shown]
	ds_read_b64 v[10:11], v124
	ds_read2_b64 v[92:95], v127 offset0:127 offset1:128
	ds_read_b64 v[8:9], v124 offset:32
	ds_read2_b64 v[104:107], v127 offset0:131 offset1:132
	ds_read_b64 v[6:7], v124 offset:64
	;; [unrolled: 2-line block ×4, first 2 shown]
	ds_read2_b64 v[110:113], v127 offset0:143 offset1:144
	ds_read_b64 v[12:13], v126
	ds_read_b64 v[14:15], v126 offset:32
	ds_read_b64 v[28:29], v252
	ds_read_b64 v[30:31], v252 offset:32
	;; [unrolled: 2-line block ×3, first 2 shown]
	ds_read_b64 v[56:57], v127 offset:16
	ds_read_b64 v[62:63], v127 offset:24
	;; [unrolled: 1-line block ×6, first 2 shown]
	s_waitcnt lgkmcnt(9)
	v_mul_f64 v[12:13], v[12:13], v[28:29]
	v_mul_f64 v[28:29], v[10:11], v[12:13]
	;; [unrolled: 1-line block ×5, first 2 shown]
	s_waitcnt lgkmcnt(7)
	v_fma_f64 v[40:41], v[48:49], v[40:41], 0
	v_mul_f64 v[48:49], v[32:33], v[28:29]
	v_mul_f64 v[48:49], v[192:193], v[48:49]
	s_waitcnt lgkmcnt(6)
	v_fmac_f64_e32 v[40:41], v[52:53], v[48:49]
	v_mul_f64 v[48:49], v[26:27], v[28:29]
	v_mul_f64 v[48:49], v[202:203], v[48:49]
	s_waitcnt lgkmcnt(5)
	v_fmac_f64_e32 v[40:41], v[56:57], v[48:49]
	v_mul_f64 v[48:49], v[22:23], v[28:29]
	v_mul_f64 v[48:49], v[198:199], v[48:49]
	;; [unrolled: 1-line block ×3, first 2 shown]
	s_waitcnt lgkmcnt(4)
	v_fmac_f64_e32 v[40:41], v[62:63], v[48:49]
	v_mul_f64 v[28:29], v[206:207], v[28:29]
	s_waitcnt lgkmcnt(3)
	v_fmac_f64_e32 v[40:41], v[28:29], v[66:67]
	v_mul_f64 v[28:29], v[8:9], v[12:13]
	v_mul_f64 v[28:29], v[106:107], v[28:29]
	;; [unrolled: 1-line block ×4, first 2 shown]
	s_waitcnt lgkmcnt(2)
	v_fmac_f64_e32 v[40:41], v[48:49], v[70:71]
	v_mul_f64 v[48:49], v[32:33], v[28:29]
	v_mul_f64 v[48:49], v[192:193], v[48:49]
	ds_read_b64 v[52:53], v127 offset:64
	s_waitcnt lgkmcnt(2)
	v_fmac_f64_e32 v[40:41], v[48:49], v[74:75]
	v_mul_f64 v[48:49], v[26:27], v[28:29]
	v_mul_f64 v[48:49], v[202:203], v[48:49]
	s_waitcnt lgkmcnt(1)
	v_fmac_f64_e32 v[40:41], v[48:49], v[78:79]
	v_mul_f64 v[48:49], v[22:23], v[28:29]
	v_mul_f64 v[48:49], v[198:199], v[48:49]
	s_waitcnt lgkmcnt(0)
	v_fmac_f64_e32 v[40:41], v[48:49], v[52:53]
	ds_read_b64 v[48:49], v127 offset:72
	ds_read_b64 v[52:53], v127 offset:80
	v_mul_f64 v[28:29], v[18:19], v[28:29]
	v_mul_f64 v[28:29], v[206:207], v[28:29]
	s_waitcnt lgkmcnt(1)
	v_fmac_f64_e32 v[40:41], v[28:29], v[48:49]
	v_mul_f64 v[28:29], v[6:7], v[12:13]
	v_mul_f64 v[28:29], v[102:103], v[28:29]
	v_mul_f64 v[48:49], v[36:37], v[28:29]
	v_mul_f64 v[48:49], v[210:211], v[48:49]
	s_waitcnt lgkmcnt(0)
	v_fmac_f64_e32 v[40:41], v[48:49], v[52:53]
	ds_read_b64 v[52:53], v127 offset:88
	v_mul_f64 v[48:49], v[32:33], v[28:29]
	v_mul_f64 v[48:49], v[192:193], v[48:49]
	s_waitcnt lgkmcnt(0)
	v_fmac_f64_e32 v[40:41], v[48:49], v[52:53]
	ds_read_b64 v[52:53], v127 offset:96
	v_mul_f64 v[48:49], v[26:27], v[28:29]
	v_mul_f64 v[48:49], v[202:203], v[48:49]
	;; [unrolled: 5-line block ×3, first 2 shown]
	v_mul_f64 v[28:29], v[18:19], v[28:29]
	v_mul_f64 v[28:29], v[206:207], v[28:29]
	s_waitcnt lgkmcnt(0)
	v_fmac_f64_e32 v[40:41], v[48:49], v[52:53]
	ds_read_b64 v[48:49], v127 offset:112
	ds_read_b64 v[52:53], v127 offset:120
	s_waitcnt lgkmcnt(1)
	v_fmac_f64_e32 v[40:41], v[28:29], v[48:49]
	v_mul_f64 v[28:29], v[4:5], v[12:13]
	v_mul_f64 v[28:29], v[116:117], v[28:29]
	;; [unrolled: 1-line block ×4, first 2 shown]
	s_waitcnt lgkmcnt(0)
	v_fmac_f64_e32 v[40:41], v[48:49], v[52:53]
	ds_read_b64 v[52:53], v127 offset:128
	v_mul_f64 v[48:49], v[32:33], v[28:29]
	v_mul_f64 v[48:49], v[192:193], v[48:49]
	;; [unrolled: 1-line block ×4, first 2 shown]
	s_waitcnt lgkmcnt(0)
	v_fmac_f64_e32 v[40:41], v[48:49], v[52:53]
	ds_read_b64 v[52:53], v127 offset:136
	v_mul_f64 v[48:49], v[26:27], v[28:29]
	v_mul_f64 v[48:49], v[202:203], v[48:49]
	s_waitcnt lgkmcnt(0)
	v_fmac_f64_e32 v[40:41], v[48:49], v[52:53]
	ds_read_b64 v[52:53], v127 offset:144
	v_mul_f64 v[48:49], v[22:23], v[28:29]
	v_mul_f64 v[48:49], v[198:199], v[48:49]
	;; [unrolled: 1-line block ×4, first 2 shown]
	s_waitcnt lgkmcnt(0)
	v_fmac_f64_e32 v[40:41], v[48:49], v[52:53]
	ds_read_b64 v[48:49], v127 offset:152
	s_waitcnt lgkmcnt(0)
	v_fmac_f64_e32 v[40:41], v[28:29], v[48:49]
	ds_read_b64 v[48:49], v127 offset:160
	v_mul_f64 v[28:29], v[36:37], v[12:13]
	v_mul_f64 v[28:29], v[210:211], v[28:29]
	s_waitcnt lgkmcnt(0)
	v_fmac_f64_e32 v[40:41], v[28:29], v[48:49]
	ds_read_b64 v[48:49], v127 offset:168
	v_mul_f64 v[28:29], v[32:33], v[12:13]
	v_mul_f64 v[28:29], v[192:193], v[28:29]
	;; [unrolled: 5-line block ×4, first 2 shown]
	v_mul_f64 v[12:13], v[18:19], v[12:13]
	v_mul_f64 v[12:13], v[206:207], v[12:13]
	s_waitcnt lgkmcnt(0)
	v_fmac_f64_e32 v[40:41], v[28:29], v[48:49]
	ds_read_b64 v[28:29], v127 offset:192
	s_waitcnt lgkmcnt(0)
	v_fmac_f64_e32 v[40:41], v[12:13], v[28:29]
	v_mul_f64 v[12:13], v[14:15], v[30:31]
	ds_read_b64 v[30:31], v127 offset:200
	v_mul_f64 v[14:15], v[10:11], v[12:13]
	v_mul_f64 v[14:15], v[94:95], v[14:15]
	v_mul_f64 v[28:29], v[36:37], v[14:15]
	v_mul_f64 v[28:29], v[210:211], v[28:29]
	s_waitcnt lgkmcnt(0)
	v_fmac_f64_e32 v[40:41], v[30:31], v[28:29]
	ds_read_b64 v[30:31], v127 offset:208
	v_mul_f64 v[28:29], v[32:33], v[14:15]
	v_mul_f64 v[28:29], v[192:193], v[28:29]
	s_waitcnt lgkmcnt(0)
	v_fmac_f64_e32 v[40:41], v[30:31], v[28:29]
	ds_read_b64 v[30:31], v127 offset:216
	v_mul_f64 v[28:29], v[26:27], v[14:15]
	v_mul_f64 v[28:29], v[202:203], v[28:29]
	s_waitcnt lgkmcnt(0)
	v_fmac_f64_e32 v[40:41], v[30:31], v[28:29]
	ds_read_b64 v[30:31], v127 offset:224
	v_mul_f64 v[28:29], v[22:23], v[14:15]
	v_mul_f64 v[28:29], v[198:199], v[28:29]
	v_mul_f64 v[14:15], v[18:19], v[14:15]
	v_mul_f64 v[14:15], v[206:207], v[14:15]
	s_waitcnt lgkmcnt(0)
	v_fmac_f64_e32 v[40:41], v[30:31], v[28:29]
	ds_read_b64 v[28:29], v127 offset:232
	ds_read_b64 v[30:31], v127 offset:240
	s_waitcnt lgkmcnt(1)
	v_fmac_f64_e32 v[40:41], v[14:15], v[28:29]
	v_mul_f64 v[14:15], v[8:9], v[12:13]
	v_mul_f64 v[14:15], v[106:107], v[14:15]
	v_mul_f64 v[28:29], v[36:37], v[14:15]
	v_mul_f64 v[28:29], v[210:211], v[28:29]
	s_waitcnt lgkmcnt(0)
	v_fmac_f64_e32 v[40:41], v[28:29], v[30:31]
	ds_read_b64 v[30:31], v127 offset:248
	v_mul_f64 v[28:29], v[32:33], v[14:15]
	v_mul_f64 v[28:29], v[192:193], v[28:29]
	s_waitcnt lgkmcnt(0)
	v_fmac_f64_e32 v[40:41], v[28:29], v[30:31]
	ds_read_b64 v[30:31], v127 offset:256
	v_mul_f64 v[28:29], v[26:27], v[14:15]
	v_mul_f64 v[28:29], v[202:203], v[28:29]
	s_waitcnt lgkmcnt(0)
	v_fmac_f64_e32 v[40:41], v[28:29], v[30:31]
	ds_read_b64 v[30:31], v127 offset:264
	v_mul_f64 v[28:29], v[22:23], v[14:15]
	v_mul_f64 v[28:29], v[198:199], v[28:29]
	v_mul_f64 v[14:15], v[18:19], v[14:15]
	v_mul_f64 v[14:15], v[206:207], v[14:15]
	s_waitcnt lgkmcnt(0)
	v_fmac_f64_e32 v[40:41], v[28:29], v[30:31]
	ds_read_b64 v[28:29], v127 offset:272
	ds_read_b64 v[30:31], v127 offset:280
	s_waitcnt lgkmcnt(1)
	v_fmac_f64_e32 v[40:41], v[14:15], v[28:29]
	;; [unrolled: 27-line block ×3, first 2 shown]
	v_mul_f64 v[14:15], v[4:5], v[12:13]
	v_mul_f64 v[14:15], v[116:117], v[14:15]
	;; [unrolled: 1-line block ×4, first 2 shown]
	s_waitcnt lgkmcnt(0)
	v_fmac_f64_e32 v[40:41], v[28:29], v[30:31]
	ds_read_b64 v[30:31], v127 offset:328
	v_mul_f64 v[28:29], v[32:33], v[14:15]
	v_mul_f64 v[28:29], v[192:193], v[28:29]
	v_mul_f64 v[12:13], v[44:45], v[12:13]
	v_mul_f64 v[12:13], v[112:113], v[12:13]
	s_waitcnt lgkmcnt(0)
	v_fmac_f64_e32 v[40:41], v[28:29], v[30:31]
	ds_read_b64 v[30:31], v127 offset:336
	v_mul_f64 v[28:29], v[26:27], v[14:15]
	v_mul_f64 v[28:29], v[202:203], v[28:29]
	s_waitcnt lgkmcnt(0)
	v_fmac_f64_e32 v[40:41], v[28:29], v[30:31]
	ds_read_b64 v[30:31], v127 offset:344
	v_mul_f64 v[28:29], v[22:23], v[14:15]
	v_mul_f64 v[28:29], v[198:199], v[28:29]
	;; [unrolled: 1-line block ×4, first 2 shown]
	s_waitcnt lgkmcnt(0)
	v_fmac_f64_e32 v[40:41], v[28:29], v[30:31]
	ds_read_b64 v[28:29], v127 offset:352
	s_waitcnt lgkmcnt(0)
	v_fmac_f64_e32 v[40:41], v[14:15], v[28:29]
	ds_read_b64 v[28:29], v127 offset:360
	v_mul_f64 v[14:15], v[36:37], v[12:13]
	v_mul_f64 v[14:15], v[210:211], v[14:15]
	s_waitcnt lgkmcnt(0)
	v_fmac_f64_e32 v[40:41], v[14:15], v[28:29]
	ds_read_b64 v[28:29], v127 offset:368
	v_mul_f64 v[14:15], v[32:33], v[12:13]
	v_mul_f64 v[14:15], v[192:193], v[14:15]
	;; [unrolled: 5-line block ×4, first 2 shown]
	v_mul_f64 v[12:13], v[18:19], v[12:13]
	v_mul_f64 v[12:13], v[206:207], v[12:13]
	s_waitcnt lgkmcnt(0)
	v_fmac_f64_e32 v[40:41], v[14:15], v[28:29]
	ds_read_b64 v[14:15], v127 offset:392
	s_waitcnt lgkmcnt(0)
	v_fmac_f64_e32 v[40:41], v[12:13], v[14:15]
	ds_read_b64 v[12:13], v126 offset:64
	ds_read_b64 v[14:15], v252 offset:64
	;; [unrolled: 1-line block ×3, first 2 shown]
	s_waitcnt lgkmcnt(1)
	v_mul_f64 v[12:13], v[12:13], v[14:15]
	v_mul_f64 v[14:15], v[10:11], v[12:13]
	v_mul_f64 v[14:15], v[94:95], v[14:15]
	v_mul_f64 v[28:29], v[36:37], v[14:15]
	v_mul_f64 v[28:29], v[210:211], v[28:29]
	s_waitcnt lgkmcnt(0)
	v_fmac_f64_e32 v[40:41], v[30:31], v[28:29]
	ds_read_b64 v[30:31], v127 offset:408
	v_mul_f64 v[28:29], v[32:33], v[14:15]
	v_mul_f64 v[28:29], v[192:193], v[28:29]
	s_waitcnt lgkmcnt(0)
	v_fmac_f64_e32 v[40:41], v[30:31], v[28:29]
	ds_read_b64 v[30:31], v127 offset:416
	v_mul_f64 v[28:29], v[26:27], v[14:15]
	v_mul_f64 v[28:29], v[202:203], v[28:29]
	s_waitcnt lgkmcnt(0)
	v_fmac_f64_e32 v[40:41], v[30:31], v[28:29]
	ds_read_b64 v[30:31], v127 offset:424
	v_mul_f64 v[28:29], v[22:23], v[14:15]
	v_mul_f64 v[28:29], v[198:199], v[28:29]
	v_mul_f64 v[14:15], v[18:19], v[14:15]
	v_mul_f64 v[14:15], v[206:207], v[14:15]
	s_waitcnt lgkmcnt(0)
	v_fmac_f64_e32 v[40:41], v[30:31], v[28:29]
	ds_read_b64 v[28:29], v127 offset:432
	ds_read_b64 v[30:31], v127 offset:440
	s_waitcnt lgkmcnt(1)
	v_fmac_f64_e32 v[40:41], v[14:15], v[28:29]
	v_mul_f64 v[14:15], v[8:9], v[12:13]
	v_mul_f64 v[14:15], v[106:107], v[14:15]
	v_mul_f64 v[28:29], v[36:37], v[14:15]
	v_mul_f64 v[28:29], v[210:211], v[28:29]
	s_waitcnt lgkmcnt(0)
	v_fmac_f64_e32 v[40:41], v[28:29], v[30:31]
	ds_read_b64 v[30:31], v127 offset:448
	v_mul_f64 v[28:29], v[32:33], v[14:15]
	v_mul_f64 v[28:29], v[192:193], v[28:29]
	s_waitcnt lgkmcnt(0)
	v_fmac_f64_e32 v[40:41], v[28:29], v[30:31]
	ds_read_b64 v[30:31], v127 offset:456
	v_mul_f64 v[28:29], v[26:27], v[14:15]
	v_mul_f64 v[28:29], v[202:203], v[28:29]
	s_waitcnt lgkmcnt(0)
	v_fmac_f64_e32 v[40:41], v[28:29], v[30:31]
	ds_read_b64 v[30:31], v127 offset:464
	v_mul_f64 v[28:29], v[22:23], v[14:15]
	v_mul_f64 v[28:29], v[198:199], v[28:29]
	v_mul_f64 v[14:15], v[18:19], v[14:15]
	v_mul_f64 v[14:15], v[206:207], v[14:15]
	s_waitcnt lgkmcnt(0)
	v_fmac_f64_e32 v[40:41], v[28:29], v[30:31]
	ds_read_b64 v[28:29], v127 offset:472
	ds_read_b64 v[30:31], v127 offset:480
	s_waitcnt lgkmcnt(1)
	v_fmac_f64_e32 v[40:41], v[14:15], v[28:29]
	v_mul_f64 v[14:15], v[6:7], v[12:13]
	v_mul_f64 v[14:15], v[102:103], v[14:15]
	v_mul_f64 v[28:29], v[36:37], v[14:15]
	v_mul_f64 v[28:29], v[210:211], v[28:29]
	;; [unrolled: 27-line block ×3, first 2 shown]
	s_waitcnt lgkmcnt(0)
	v_fmac_f64_e32 v[40:41], v[28:29], v[30:31]
	ds_read_b64 v[30:31], v127 offset:528
	v_mul_f64 v[28:29], v[32:33], v[14:15]
	v_mul_f64 v[28:29], v[192:193], v[28:29]
	;; [unrolled: 1-line block ×4, first 2 shown]
	s_waitcnt lgkmcnt(0)
	v_fmac_f64_e32 v[40:41], v[28:29], v[30:31]
	ds_read_b64 v[30:31], v127 offset:536
	v_mul_f64 v[28:29], v[26:27], v[14:15]
	v_mul_f64 v[28:29], v[202:203], v[28:29]
	s_waitcnt lgkmcnt(0)
	v_fmac_f64_e32 v[40:41], v[28:29], v[30:31]
	ds_read_b64 v[30:31], v127 offset:544
	v_mul_f64 v[28:29], v[22:23], v[14:15]
	v_mul_f64 v[28:29], v[198:199], v[28:29]
	;; [unrolled: 1-line block ×4, first 2 shown]
	s_waitcnt lgkmcnt(0)
	v_fmac_f64_e32 v[40:41], v[28:29], v[30:31]
	ds_read_b64 v[28:29], v127 offset:552
	s_waitcnt lgkmcnt(0)
	v_fmac_f64_e32 v[40:41], v[14:15], v[28:29]
	ds_read_b64 v[28:29], v127 offset:560
	v_mul_f64 v[14:15], v[36:37], v[12:13]
	v_mul_f64 v[14:15], v[210:211], v[14:15]
	s_waitcnt lgkmcnt(0)
	v_fmac_f64_e32 v[40:41], v[14:15], v[28:29]
	ds_read_b64 v[28:29], v127 offset:568
	v_mul_f64 v[14:15], v[32:33], v[12:13]
	v_mul_f64 v[14:15], v[192:193], v[14:15]
	;; [unrolled: 5-line block ×4, first 2 shown]
	v_mul_f64 v[12:13], v[18:19], v[12:13]
	v_mul_f64 v[12:13], v[206:207], v[12:13]
	s_waitcnt lgkmcnt(0)
	v_fmac_f64_e32 v[40:41], v[14:15], v[28:29]
	ds_read_b64 v[14:15], v127 offset:592
	s_waitcnt lgkmcnt(0)
	v_fmac_f64_e32 v[40:41], v[12:13], v[14:15]
	ds_read_b64 v[12:13], v126 offset:96
	ds_read_b64 v[14:15], v252 offset:96
	;; [unrolled: 1-line block ×3, first 2 shown]
	s_waitcnt lgkmcnt(1)
	v_mul_f64 v[12:13], v[12:13], v[14:15]
	v_mul_f64 v[14:15], v[10:11], v[12:13]
	;; [unrolled: 1-line block ×5, first 2 shown]
	s_waitcnt lgkmcnt(0)
	v_fmac_f64_e32 v[40:41], v[30:31], v[28:29]
	ds_read_b64 v[30:31], v127 offset:608
	v_mul_f64 v[28:29], v[32:33], v[14:15]
	v_mul_f64 v[28:29], v[192:193], v[28:29]
	s_waitcnt lgkmcnt(0)
	v_fmac_f64_e32 v[40:41], v[30:31], v[28:29]
	ds_read_b64 v[30:31], v127 offset:616
	v_mul_f64 v[28:29], v[26:27], v[14:15]
	v_mul_f64 v[28:29], v[202:203], v[28:29]
	s_waitcnt lgkmcnt(0)
	v_fmac_f64_e32 v[40:41], v[30:31], v[28:29]
	ds_read_b64 v[30:31], v127 offset:624
	v_mul_f64 v[28:29], v[22:23], v[14:15]
	v_mul_f64 v[28:29], v[198:199], v[28:29]
	v_mul_f64 v[14:15], v[18:19], v[14:15]
	v_mul_f64 v[14:15], v[206:207], v[14:15]
	s_waitcnt lgkmcnt(0)
	v_fmac_f64_e32 v[40:41], v[30:31], v[28:29]
	ds_read_b64 v[28:29], v127 offset:632
	ds_read_b64 v[30:31], v127 offset:640
	s_waitcnt lgkmcnt(1)
	v_fmac_f64_e32 v[40:41], v[14:15], v[28:29]
	v_mul_f64 v[14:15], v[8:9], v[12:13]
	v_mul_f64 v[14:15], v[106:107], v[14:15]
	v_mul_f64 v[28:29], v[36:37], v[14:15]
	v_mul_f64 v[28:29], v[210:211], v[28:29]
	s_waitcnt lgkmcnt(0)
	v_fmac_f64_e32 v[40:41], v[28:29], v[30:31]
	ds_read_b64 v[30:31], v127 offset:648
	v_mul_f64 v[28:29], v[32:33], v[14:15]
	v_mul_f64 v[28:29], v[192:193], v[28:29]
	s_waitcnt lgkmcnt(0)
	v_fmac_f64_e32 v[40:41], v[28:29], v[30:31]
	ds_read_b64 v[30:31], v127 offset:656
	v_mul_f64 v[28:29], v[26:27], v[14:15]
	v_mul_f64 v[28:29], v[202:203], v[28:29]
	s_waitcnt lgkmcnt(0)
	v_fmac_f64_e32 v[40:41], v[28:29], v[30:31]
	ds_read_b64 v[30:31], v127 offset:664
	v_mul_f64 v[28:29], v[22:23], v[14:15]
	v_mul_f64 v[28:29], v[198:199], v[28:29]
	v_mul_f64 v[14:15], v[18:19], v[14:15]
	v_mul_f64 v[14:15], v[206:207], v[14:15]
	s_waitcnt lgkmcnt(0)
	v_fmac_f64_e32 v[40:41], v[28:29], v[30:31]
	ds_read_b64 v[28:29], v127 offset:672
	ds_read_b64 v[30:31], v127 offset:680
	s_waitcnt lgkmcnt(1)
	v_fmac_f64_e32 v[40:41], v[14:15], v[28:29]
	v_mul_f64 v[14:15], v[6:7], v[12:13]
	v_mul_f64 v[14:15], v[102:103], v[14:15]
	v_mul_f64 v[28:29], v[36:37], v[14:15]
	v_mul_f64 v[28:29], v[210:211], v[28:29]
	s_waitcnt lgkmcnt(0)
	v_fmac_f64_e32 v[40:41], v[28:29], v[30:31]
	ds_read_b64 v[30:31], v127 offset:688
	v_mul_f64 v[28:29], v[32:33], v[14:15]
	v_mul_f64 v[28:29], v[192:193], v[28:29]
	s_waitcnt lgkmcnt(0)
	v_fmac_f64_e32 v[40:41], v[28:29], v[30:31]
	ds_read_b64 v[30:31], v127 offset:696
	v_mul_f64 v[28:29], v[26:27], v[14:15]
	v_mul_f64 v[28:29], v[202:203], v[28:29]
	s_waitcnt lgkmcnt(0)
	v_fmac_f64_e32 v[40:41], v[28:29], v[30:31]
	ds_read_b64 v[30:31], v127 offset:704
	v_mul_f64 v[28:29], v[22:23], v[14:15]
	v_mul_f64 v[28:29], v[198:199], v[28:29]
	v_mul_f64 v[14:15], v[18:19], v[14:15]
	v_mul_f64 v[14:15], v[206:207], v[14:15]
	s_waitcnt lgkmcnt(0)
	v_fmac_f64_e32 v[40:41], v[28:29], v[30:31]
	ds_read_b64 v[28:29], v127 offset:712
	ds_read_b64 v[30:31], v127 offset:720
	s_waitcnt lgkmcnt(1)
	v_fmac_f64_e32 v[40:41], v[14:15], v[28:29]
	v_mul_f64 v[14:15], v[4:5], v[12:13]
	v_mul_f64 v[14:15], v[116:117], v[14:15]
	v_mul_f64 v[28:29], v[36:37], v[14:15]
	v_mul_f64 v[28:29], v[210:211], v[28:29]
	s_waitcnt lgkmcnt(0)
	v_fmac_f64_e32 v[40:41], v[28:29], v[30:31]
	ds_read_b64 v[30:31], v127 offset:728
	v_mul_f64 v[28:29], v[32:33], v[14:15]
	v_mul_f64 v[28:29], v[192:193], v[28:29]
	;; [unrolled: 1-line block ×4, first 2 shown]
	s_waitcnt lgkmcnt(0)
	v_fmac_f64_e32 v[40:41], v[28:29], v[30:31]
	ds_read_b64 v[30:31], v127 offset:736
	v_mul_f64 v[28:29], v[26:27], v[14:15]
	v_mul_f64 v[28:29], v[202:203], v[28:29]
	s_waitcnt lgkmcnt(0)
	v_fmac_f64_e32 v[40:41], v[28:29], v[30:31]
	ds_read_b64 v[30:31], v127 offset:744
	v_mul_f64 v[28:29], v[22:23], v[14:15]
	v_mul_f64 v[28:29], v[198:199], v[28:29]
	;; [unrolled: 1-line block ×4, first 2 shown]
	s_waitcnt lgkmcnt(0)
	v_fmac_f64_e32 v[40:41], v[28:29], v[30:31]
	ds_read_b64 v[28:29], v127 offset:752
	s_waitcnt lgkmcnt(0)
	v_fmac_f64_e32 v[40:41], v[14:15], v[28:29]
	ds_read_b64 v[28:29], v127 offset:760
	v_mul_f64 v[14:15], v[36:37], v[12:13]
	v_mul_f64 v[14:15], v[210:211], v[14:15]
	s_waitcnt lgkmcnt(0)
	v_fmac_f64_e32 v[40:41], v[14:15], v[28:29]
	ds_read_b64 v[28:29], v127 offset:768
	v_mul_f64 v[14:15], v[32:33], v[12:13]
	v_mul_f64 v[14:15], v[192:193], v[14:15]
	s_waitcnt lgkmcnt(0)
	v_fmac_f64_e32 v[40:41], v[14:15], v[28:29]
	ds_read_b64 v[28:29], v127 offset:776
	v_mul_f64 v[14:15], v[26:27], v[12:13]
	v_mul_f64 v[14:15], v[202:203], v[14:15]
	s_waitcnt lgkmcnt(0)
	v_fmac_f64_e32 v[40:41], v[14:15], v[28:29]
	ds_read_b64 v[28:29], v127 offset:784
	v_mul_f64 v[14:15], v[22:23], v[12:13]
	v_mul_f64 v[14:15], v[198:199], v[14:15]
	v_mul_f64 v[12:13], v[18:19], v[12:13]
	v_mul_f64 v[12:13], v[206:207], v[12:13]
	s_waitcnt lgkmcnt(0)
	v_fmac_f64_e32 v[40:41], v[14:15], v[28:29]
	ds_read_b64 v[14:15], v127 offset:792
	s_waitcnt lgkmcnt(0)
	v_fmac_f64_e32 v[40:41], v[12:13], v[14:15]
	ds_read_b64 v[12:13], v126 offset:128
	ds_read_b64 v[14:15], v252 offset:128
	;; [unrolled: 1-line block ×3, first 2 shown]
	s_waitcnt lgkmcnt(1)
	v_mul_f64 v[12:13], v[12:13], v[14:15]
	v_mul_f64 v[10:11], v[10:11], v[12:13]
	;; [unrolled: 1-line block ×5, first 2 shown]
	s_waitcnt lgkmcnt(0)
	v_fmac_f64_e32 v[40:41], v[28:29], v[14:15]
	ds_read_b64 v[28:29], v127 offset:808
	v_mul_f64 v[14:15], v[32:33], v[10:11]
	v_mul_f64 v[14:15], v[192:193], v[14:15]
	v_mul_f64 v[8:9], v[8:9], v[12:13]
	v_mul_f64 v[8:9], v[106:107], v[8:9]
	s_waitcnt lgkmcnt(0)
	v_fmac_f64_e32 v[40:41], v[28:29], v[14:15]
	ds_read_b64 v[28:29], v127 offset:816
	v_mul_f64 v[14:15], v[26:27], v[10:11]
	v_mul_f64 v[14:15], v[202:203], v[14:15]
	v_mul_f64 v[6:7], v[6:7], v[12:13]
	v_mul_f64 v[6:7], v[102:103], v[6:7]
	;; [unrolled: 7-line block ×3, first 2 shown]
	s_waitcnt lgkmcnt(0)
	v_fmac_f64_e32 v[40:41], v[28:29], v[14:15]
	ds_read_b64 v[14:15], v127 offset:832
	v_mul_f64 v[4:5], v[4:5], v[12:13]
	v_mul_f64 v[4:5], v[116:117], v[4:5]
	s_waitcnt lgkmcnt(0)
	v_fmac_f64_e32 v[40:41], v[10:11], v[14:15]
	ds_read_b64 v[14:15], v127 offset:840
	v_mul_f64 v[10:11], v[36:37], v[8:9]
	v_mul_f64 v[10:11], v[210:211], v[10:11]
	;; [unrolled: 5-line block ×5, first 2 shown]
	v_mul_f64 v[8:9], v[18:19], v[8:9]
	v_mul_f64 v[8:9], v[206:207], v[8:9]
	s_waitcnt lgkmcnt(0)
	v_fmac_f64_e32 v[40:41], v[10:11], v[14:15]
	ds_read_b64 v[10:11], v127 offset:872
	s_waitcnt lgkmcnt(0)
	v_fmac_f64_e32 v[40:41], v[8:9], v[10:11]
	ds_read_b64 v[10:11], v127 offset:880
	v_mul_f64 v[8:9], v[36:37], v[6:7]
	v_mul_f64 v[8:9], v[210:211], v[8:9]
	s_waitcnt lgkmcnt(0)
	v_fmac_f64_e32 v[40:41], v[8:9], v[10:11]
	ds_read_b64 v[10:11], v127 offset:888
	v_mul_f64 v[8:9], v[32:33], v[6:7]
	v_mul_f64 v[8:9], v[192:193], v[8:9]
	;; [unrolled: 5-line block ×4, first 2 shown]
	v_mul_f64 v[6:7], v[18:19], v[6:7]
	v_mul_f64 v[6:7], v[206:207], v[6:7]
	s_waitcnt lgkmcnt(0)
	v_fmac_f64_e32 v[40:41], v[8:9], v[10:11]
	ds_read_b64 v[8:9], v127 offset:912
	s_waitcnt lgkmcnt(0)
	v_fmac_f64_e32 v[40:41], v[6:7], v[8:9]
	ds_read_b64 v[8:9], v127 offset:920
	v_mul_f64 v[6:7], v[36:37], v[4:5]
	v_mul_f64 v[6:7], v[210:211], v[6:7]
	s_waitcnt lgkmcnt(0)
	v_fmac_f64_e32 v[40:41], v[6:7], v[8:9]
	ds_read_b64 v[8:9], v127 offset:928
	v_mul_f64 v[6:7], v[32:33], v[4:5]
	v_mul_f64 v[6:7], v[192:193], v[6:7]
	;; [unrolled: 5-line block ×4, first 2 shown]
	v_mul_f64 v[4:5], v[18:19], v[4:5]
	v_mul_f64 v[4:5], v[206:207], v[4:5]
	s_waitcnt lgkmcnt(0)
	v_fmac_f64_e32 v[40:41], v[6:7], v[8:9]
	ds_read_b64 v[6:7], v127 offset:952
	ds_read_b64 v[8:9], v127 offset:960
	s_waitcnt lgkmcnt(1)
	v_fmac_f64_e32 v[40:41], v[4:5], v[6:7]
	v_mul_f64 v[4:5], v[44:45], v[12:13]
	v_mul_f64 v[4:5], v[112:113], v[4:5]
	;; [unrolled: 1-line block ×4, first 2 shown]
	s_waitcnt lgkmcnt(0)
	v_fmac_f64_e32 v[40:41], v[6:7], v[8:9]
	ds_read_b64 v[8:9], v127 offset:968
	v_mul_f64 v[6:7], v[32:33], v[4:5]
	v_mul_f64 v[6:7], v[192:193], v[6:7]
	s_waitcnt lgkmcnt(0)
	v_fmac_f64_e32 v[40:41], v[6:7], v[8:9]
	ds_read_b64 v[8:9], v127 offset:976
	v_mul_f64 v[6:7], v[26:27], v[4:5]
	v_mul_f64 v[6:7], v[202:203], v[6:7]
	;; [unrolled: 5-line block ×3, first 2 shown]
	v_mul_f64 v[4:5], v[18:19], v[4:5]
	v_mul_f64 v[4:5], v[206:207], v[4:5]
	s_waitcnt lgkmcnt(0)
	v_fmac_f64_e32 v[40:41], v[6:7], v[8:9]
	ds_read_b64 v[6:7], v127 offset:992
	v_add_co_u32_e32 v18, vcc, s6, v60
	s_waitcnt lgkmcnt(0)
	v_fmac_f64_e32 v[40:41], v[4:5], v[6:7]
	v_addc_co_u32_e32 v19, vcc, 0, v61, vcc
	global_store_dwordx2 v[18:19], v[40:41], off
	ds_read_b64 v[40:41], v125
	ds_read_b64 v[36:37], v125 offset:32
	ds_read_b64 v[32:33], v125 offset:64
	;; [unrolled: 1-line block ×4, first 2 shown]
	ds_read_b64 v[28:29], v124
	ds_read_b64 v[30:31], v127 offset:1024
	ds_read_b64 v[12:13], v124 offset:32
	;; [unrolled: 1-line block ×9, first 2 shown]
	ds_read_b64 v[44:45], v126
	ds_read_b64 v[56:57], v126 offset:32
	ds_read_b64 v[62:63], v252
	ds_read_b64 v[66:67], v252 offset:32
	;; [unrolled: 2-line block ×3, first 2 shown]
	ds_read_b64 v[84:85], v127 offset:16
	ds_read_b64 v[88:89], v127 offset:24
	;; [unrolled: 1-line block ×6, first 2 shown]
	s_waitcnt lgkmcnt(9)
	v_mul_f64 v[62:63], v[44:45], v[62:63]
	v_mul_f64 v[44:45], v[28:29], v[62:63]
	;; [unrolled: 1-line block ×5, first 2 shown]
	s_waitcnt lgkmcnt(7)
	v_fma_f64 v[44:45], v[74:75], v[44:45], 0
	v_mul_f64 v[74:75], v[36:37], v[70:71]
	v_mul_f64 v[74:75], v[104:105], v[74:75]
	s_waitcnt lgkmcnt(6)
	v_fmac_f64_e32 v[44:45], v[78:79], v[74:75]
	v_mul_f64 v[74:75], v[32:33], v[70:71]
	v_mul_f64 v[74:75], v[100:101], v[74:75]
	s_waitcnt lgkmcnt(5)
	v_fmac_f64_e32 v[44:45], v[84:85], v[74:75]
	v_mul_f64 v[74:75], v[26:27], v[70:71]
	v_mul_f64 v[74:75], v[114:115], v[74:75]
	v_mul_f64 v[70:71], v[22:23], v[70:71]
	s_waitcnt lgkmcnt(4)
	v_fmac_f64_e32 v[44:45], v[88:89], v[74:75]
	v_mul_f64 v[70:71], v[110:111], v[70:71]
	s_waitcnt lgkmcnt(3)
	v_fmac_f64_e32 v[44:45], v[70:71], v[94:95]
	v_mul_f64 v[70:71], v[12:13], v[62:63]
	v_mul_f64 v[70:71], v[14:15], v[70:71]
	;; [unrolled: 1-line block ×4, first 2 shown]
	s_waitcnt lgkmcnt(2)
	v_fmac_f64_e32 v[44:45], v[74:75], v[96:97]
	v_mul_f64 v[74:75], v[36:37], v[70:71]
	v_mul_f64 v[74:75], v[104:105], v[74:75]
	ds_read_b64 v[78:79], v127 offset:64
	s_waitcnt lgkmcnt(2)
	v_fmac_f64_e32 v[44:45], v[74:75], v[98:99]
	v_mul_f64 v[74:75], v[32:33], v[70:71]
	v_mul_f64 v[74:75], v[100:101], v[74:75]
	s_waitcnt lgkmcnt(1)
	v_fmac_f64_e32 v[44:45], v[74:75], v[102:103]
	v_mul_f64 v[74:75], v[26:27], v[70:71]
	v_mul_f64 v[74:75], v[114:115], v[74:75]
	s_waitcnt lgkmcnt(0)
	v_fmac_f64_e32 v[44:45], v[74:75], v[78:79]
	ds_read_b64 v[74:75], v127 offset:72
	ds_read_b64 v[78:79], v127 offset:80
	v_mul_f64 v[70:71], v[22:23], v[70:71]
	v_mul_f64 v[70:71], v[110:111], v[70:71]
	;; [unrolled: 1-line block ×3, first 2 shown]
	s_waitcnt lgkmcnt(1)
	v_fmac_f64_e32 v[44:45], v[70:71], v[74:75]
	v_mul_f64 v[70:71], v[8:9], v[62:63]
	v_mul_f64 v[70:71], v[10:11], v[70:71]
	;; [unrolled: 1-line block ×4, first 2 shown]
	s_waitcnt lgkmcnt(0)
	v_fmac_f64_e32 v[44:45], v[74:75], v[78:79]
	ds_read_b64 v[78:79], v127 offset:88
	v_mul_f64 v[74:75], v[36:37], v[70:71]
	v_mul_f64 v[74:75], v[104:105], v[74:75]
	s_waitcnt lgkmcnt(0)
	v_fmac_f64_e32 v[44:45], v[74:75], v[78:79]
	ds_read_b64 v[78:79], v127 offset:96
	v_mul_f64 v[74:75], v[32:33], v[70:71]
	v_mul_f64 v[74:75], v[100:101], v[74:75]
	;; [unrolled: 5-line block ×3, first 2 shown]
	v_mul_f64 v[70:71], v[22:23], v[70:71]
	v_mul_f64 v[70:71], v[110:111], v[70:71]
	s_waitcnt lgkmcnt(0)
	v_fmac_f64_e32 v[44:45], v[74:75], v[78:79]
	ds_read_b64 v[74:75], v127 offset:112
	ds_read_b64 v[78:79], v127 offset:120
	s_waitcnt lgkmcnt(1)
	v_fmac_f64_e32 v[44:45], v[70:71], v[74:75]
	v_mul_f64 v[70:71], v[4:5], v[62:63]
	v_mul_f64 v[70:71], v[6:7], v[70:71]
	;; [unrolled: 1-line block ×4, first 2 shown]
	s_waitcnt lgkmcnt(0)
	v_fmac_f64_e32 v[44:45], v[74:75], v[78:79]
	ds_read_b64 v[78:79], v127 offset:128
	v_mul_f64 v[74:75], v[36:37], v[70:71]
	v_mul_f64 v[74:75], v[104:105], v[74:75]
	;; [unrolled: 1-line block ×4, first 2 shown]
	s_waitcnt lgkmcnt(0)
	v_fmac_f64_e32 v[44:45], v[74:75], v[78:79]
	ds_read_b64 v[78:79], v127 offset:136
	v_mul_f64 v[74:75], v[32:33], v[70:71]
	v_mul_f64 v[74:75], v[100:101], v[74:75]
	s_waitcnt lgkmcnt(0)
	v_fmac_f64_e32 v[44:45], v[74:75], v[78:79]
	ds_read_b64 v[78:79], v127 offset:144
	v_mul_f64 v[74:75], v[26:27], v[70:71]
	v_mul_f64 v[74:75], v[114:115], v[74:75]
	;; [unrolled: 1-line block ×4, first 2 shown]
	s_waitcnt lgkmcnt(0)
	v_fmac_f64_e32 v[44:45], v[74:75], v[78:79]
	ds_read_b64 v[74:75], v127 offset:152
	s_waitcnt lgkmcnt(0)
	v_fmac_f64_e32 v[44:45], v[70:71], v[74:75]
	ds_read_b64 v[74:75], v127 offset:160
	v_mul_f64 v[70:71], v[40:41], v[62:63]
	v_mul_f64 v[70:71], v[92:93], v[70:71]
	s_waitcnt lgkmcnt(0)
	v_fmac_f64_e32 v[44:45], v[70:71], v[74:75]
	ds_read_b64 v[74:75], v127 offset:168
	v_mul_f64 v[70:71], v[36:37], v[62:63]
	v_mul_f64 v[70:71], v[104:105], v[70:71]
	;; [unrolled: 5-line block ×4, first 2 shown]
	v_mul_f64 v[62:63], v[22:23], v[62:63]
	v_mul_f64 v[62:63], v[110:111], v[62:63]
	s_waitcnt lgkmcnt(0)
	v_fmac_f64_e32 v[44:45], v[70:71], v[74:75]
	ds_read_b64 v[70:71], v127 offset:192
	s_waitcnt lgkmcnt(0)
	v_fmac_f64_e32 v[44:45], v[62:63], v[70:71]
	ds_read_b64 v[70:71], v127 offset:200
	v_mul_f64 v[62:63], v[28:29], v[56:57]
	v_mul_f64 v[62:63], v[30:31], v[62:63]
	v_mul_f64 v[66:67], v[40:41], v[62:63]
	v_mul_f64 v[66:67], v[92:93], v[66:67]
	s_waitcnt lgkmcnt(0)
	v_fmac_f64_e32 v[44:45], v[70:71], v[66:67]
	ds_read_b64 v[70:71], v127 offset:208
	v_mul_f64 v[66:67], v[36:37], v[62:63]
	v_mul_f64 v[66:67], v[104:105], v[66:67]
	s_waitcnt lgkmcnt(0)
	v_fmac_f64_e32 v[44:45], v[70:71], v[66:67]
	ds_read_b64 v[70:71], v127 offset:216
	v_mul_f64 v[66:67], v[32:33], v[62:63]
	v_mul_f64 v[66:67], v[100:101], v[66:67]
	s_waitcnt lgkmcnt(0)
	v_fmac_f64_e32 v[44:45], v[70:71], v[66:67]
	ds_read_b64 v[70:71], v127 offset:224
	v_mul_f64 v[66:67], v[26:27], v[62:63]
	v_mul_f64 v[66:67], v[114:115], v[66:67]
	v_mul_f64 v[62:63], v[22:23], v[62:63]
	v_mul_f64 v[62:63], v[110:111], v[62:63]
	s_waitcnt lgkmcnt(0)
	v_fmac_f64_e32 v[44:45], v[70:71], v[66:67]
	ds_read_b64 v[66:67], v127 offset:232
	ds_read_b64 v[70:71], v127 offset:240
	s_waitcnt lgkmcnt(1)
	v_fmac_f64_e32 v[44:45], v[62:63], v[66:67]
	v_mul_f64 v[62:63], v[12:13], v[56:57]
	v_mul_f64 v[62:63], v[14:15], v[62:63]
	v_mul_f64 v[66:67], v[40:41], v[62:63]
	v_mul_f64 v[66:67], v[92:93], v[66:67]
	s_waitcnt lgkmcnt(0)
	v_fmac_f64_e32 v[44:45], v[66:67], v[70:71]
	ds_read_b64 v[70:71], v127 offset:248
	v_mul_f64 v[66:67], v[36:37], v[62:63]
	v_mul_f64 v[66:67], v[104:105], v[66:67]
	s_waitcnt lgkmcnt(0)
	v_fmac_f64_e32 v[44:45], v[66:67], v[70:71]
	ds_read_b64 v[70:71], v127 offset:256
	v_mul_f64 v[66:67], v[32:33], v[62:63]
	v_mul_f64 v[66:67], v[100:101], v[66:67]
	s_waitcnt lgkmcnt(0)
	v_fmac_f64_e32 v[44:45], v[66:67], v[70:71]
	ds_read_b64 v[70:71], v127 offset:264
	v_mul_f64 v[66:67], v[26:27], v[62:63]
	v_mul_f64 v[66:67], v[114:115], v[66:67]
	v_mul_f64 v[62:63], v[22:23], v[62:63]
	v_mul_f64 v[62:63], v[110:111], v[62:63]
	s_waitcnt lgkmcnt(0)
	v_fmac_f64_e32 v[44:45], v[66:67], v[70:71]
	ds_read_b64 v[66:67], v127 offset:272
	ds_read_b64 v[70:71], v127 offset:280
	s_waitcnt lgkmcnt(1)
	v_fmac_f64_e32 v[44:45], v[62:63], v[66:67]
	;; [unrolled: 27-line block ×3, first 2 shown]
	v_mul_f64 v[62:63], v[4:5], v[56:57]
	v_mul_f64 v[62:63], v[6:7], v[62:63]
	;; [unrolled: 1-line block ×4, first 2 shown]
	s_waitcnt lgkmcnt(0)
	v_fmac_f64_e32 v[44:45], v[66:67], v[70:71]
	ds_read_b64 v[70:71], v127 offset:328
	v_mul_f64 v[66:67], v[36:37], v[62:63]
	v_mul_f64 v[66:67], v[104:105], v[66:67]
	;; [unrolled: 1-line block ×4, first 2 shown]
	s_waitcnt lgkmcnt(0)
	v_fmac_f64_e32 v[44:45], v[66:67], v[70:71]
	ds_read_b64 v[70:71], v127 offset:336
	v_mul_f64 v[66:67], v[32:33], v[62:63]
	v_mul_f64 v[66:67], v[100:101], v[66:67]
	s_waitcnt lgkmcnt(0)
	v_fmac_f64_e32 v[44:45], v[66:67], v[70:71]
	ds_read_b64 v[70:71], v127 offset:344
	v_mul_f64 v[66:67], v[26:27], v[62:63]
	v_mul_f64 v[66:67], v[114:115], v[66:67]
	;; [unrolled: 1-line block ×4, first 2 shown]
	s_waitcnt lgkmcnt(0)
	v_fmac_f64_e32 v[44:45], v[66:67], v[70:71]
	ds_read_b64 v[66:67], v127 offset:352
	s_waitcnt lgkmcnt(0)
	v_fmac_f64_e32 v[44:45], v[62:63], v[66:67]
	ds_read_b64 v[66:67], v127 offset:360
	v_mul_f64 v[62:63], v[40:41], v[56:57]
	v_mul_f64 v[62:63], v[92:93], v[62:63]
	s_waitcnt lgkmcnt(0)
	v_fmac_f64_e32 v[44:45], v[62:63], v[66:67]
	ds_read_b64 v[66:67], v127 offset:368
	v_mul_f64 v[62:63], v[36:37], v[56:57]
	v_mul_f64 v[62:63], v[104:105], v[62:63]
	s_waitcnt lgkmcnt(0)
	v_fmac_f64_e32 v[44:45], v[62:63], v[66:67]
	ds_read_b64 v[66:67], v127 offset:376
	v_mul_f64 v[62:63], v[32:33], v[56:57]
	v_mul_f64 v[62:63], v[100:101], v[62:63]
	s_waitcnt lgkmcnt(0)
	v_fmac_f64_e32 v[44:45], v[62:63], v[66:67]
	ds_read_b64 v[66:67], v127 offset:384
	v_mul_f64 v[62:63], v[26:27], v[56:57]
	v_mul_f64 v[62:63], v[114:115], v[62:63]
	v_mul_f64 v[56:57], v[22:23], v[56:57]
	v_mul_f64 v[56:57], v[110:111], v[56:57]
	s_waitcnt lgkmcnt(0)
	v_fmac_f64_e32 v[44:45], v[62:63], v[66:67]
	ds_read_b64 v[62:63], v127 offset:392
	s_waitcnt lgkmcnt(0)
	v_fmac_f64_e32 v[44:45], v[56:57], v[62:63]
	ds_read_b64 v[56:57], v126 offset:64
	ds_read_b64 v[62:63], v252 offset:64
	;; [unrolled: 1-line block ×3, first 2 shown]
	s_waitcnt lgkmcnt(1)
	v_mul_f64 v[56:57], v[56:57], v[62:63]
	v_mul_f64 v[62:63], v[28:29], v[56:57]
	;; [unrolled: 1-line block ×5, first 2 shown]
	s_waitcnt lgkmcnt(0)
	v_fmac_f64_e32 v[44:45], v[70:71], v[66:67]
	ds_read_b64 v[70:71], v127 offset:408
	v_mul_f64 v[66:67], v[36:37], v[62:63]
	v_mul_f64 v[66:67], v[104:105], v[66:67]
	s_waitcnt lgkmcnt(0)
	v_fmac_f64_e32 v[44:45], v[70:71], v[66:67]
	ds_read_b64 v[70:71], v127 offset:416
	v_mul_f64 v[66:67], v[32:33], v[62:63]
	v_mul_f64 v[66:67], v[100:101], v[66:67]
	s_waitcnt lgkmcnt(0)
	v_fmac_f64_e32 v[44:45], v[70:71], v[66:67]
	ds_read_b64 v[70:71], v127 offset:424
	v_mul_f64 v[66:67], v[26:27], v[62:63]
	v_mul_f64 v[66:67], v[114:115], v[66:67]
	v_mul_f64 v[62:63], v[22:23], v[62:63]
	v_mul_f64 v[62:63], v[110:111], v[62:63]
	s_waitcnt lgkmcnt(0)
	v_fmac_f64_e32 v[44:45], v[70:71], v[66:67]
	ds_read_b64 v[66:67], v127 offset:432
	ds_read_b64 v[70:71], v127 offset:440
	s_waitcnt lgkmcnt(1)
	v_fmac_f64_e32 v[44:45], v[62:63], v[66:67]
	v_mul_f64 v[62:63], v[12:13], v[56:57]
	v_mul_f64 v[62:63], v[14:15], v[62:63]
	v_mul_f64 v[66:67], v[40:41], v[62:63]
	v_mul_f64 v[66:67], v[92:93], v[66:67]
	s_waitcnt lgkmcnt(0)
	v_fmac_f64_e32 v[44:45], v[66:67], v[70:71]
	ds_read_b64 v[70:71], v127 offset:448
	v_mul_f64 v[66:67], v[36:37], v[62:63]
	v_mul_f64 v[66:67], v[104:105], v[66:67]
	s_waitcnt lgkmcnt(0)
	v_fmac_f64_e32 v[44:45], v[66:67], v[70:71]
	ds_read_b64 v[70:71], v127 offset:456
	v_mul_f64 v[66:67], v[32:33], v[62:63]
	v_mul_f64 v[66:67], v[100:101], v[66:67]
	s_waitcnt lgkmcnt(0)
	v_fmac_f64_e32 v[44:45], v[66:67], v[70:71]
	ds_read_b64 v[70:71], v127 offset:464
	v_mul_f64 v[66:67], v[26:27], v[62:63]
	v_mul_f64 v[66:67], v[114:115], v[66:67]
	v_mul_f64 v[62:63], v[22:23], v[62:63]
	v_mul_f64 v[62:63], v[110:111], v[62:63]
	s_waitcnt lgkmcnt(0)
	v_fmac_f64_e32 v[44:45], v[66:67], v[70:71]
	ds_read_b64 v[66:67], v127 offset:472
	ds_read_b64 v[70:71], v127 offset:480
	s_waitcnt lgkmcnt(1)
	v_fmac_f64_e32 v[44:45], v[62:63], v[66:67]
	v_mul_f64 v[62:63], v[8:9], v[56:57]
	v_mul_f64 v[62:63], v[10:11], v[62:63]
	v_mul_f64 v[66:67], v[40:41], v[62:63]
	v_mul_f64 v[66:67], v[92:93], v[66:67]
	s_waitcnt lgkmcnt(0)
	v_fmac_f64_e32 v[44:45], v[66:67], v[70:71]
	ds_read_b64 v[70:71], v127 offset:488
	v_mul_f64 v[66:67], v[36:37], v[62:63]
	v_mul_f64 v[66:67], v[104:105], v[66:67]
	s_waitcnt lgkmcnt(0)
	v_fmac_f64_e32 v[44:45], v[66:67], v[70:71]
	ds_read_b64 v[70:71], v127 offset:496
	v_mul_f64 v[66:67], v[32:33], v[62:63]
	v_mul_f64 v[66:67], v[100:101], v[66:67]
	s_waitcnt lgkmcnt(0)
	v_fmac_f64_e32 v[44:45], v[66:67], v[70:71]
	ds_read_b64 v[70:71], v127 offset:504
	v_mul_f64 v[66:67], v[26:27], v[62:63]
	v_mul_f64 v[66:67], v[114:115], v[66:67]
	v_mul_f64 v[62:63], v[22:23], v[62:63]
	v_mul_f64 v[62:63], v[110:111], v[62:63]
	s_waitcnt lgkmcnt(0)
	v_fmac_f64_e32 v[44:45], v[66:67], v[70:71]
	ds_read_b64 v[66:67], v127 offset:512
	ds_read_b64 v[70:71], v127 offset:520
	s_waitcnt lgkmcnt(1)
	v_fmac_f64_e32 v[44:45], v[62:63], v[66:67]
	v_mul_f64 v[62:63], v[4:5], v[56:57]
	v_mul_f64 v[62:63], v[6:7], v[62:63]
	v_mul_f64 v[66:67], v[40:41], v[62:63]
	v_mul_f64 v[66:67], v[92:93], v[66:67]
	s_waitcnt lgkmcnt(0)
	v_fmac_f64_e32 v[44:45], v[66:67], v[70:71]
	ds_read_b64 v[70:71], v127 offset:528
	v_mul_f64 v[66:67], v[36:37], v[62:63]
	v_mul_f64 v[66:67], v[104:105], v[66:67]
	;; [unrolled: 1-line block ×4, first 2 shown]
	s_waitcnt lgkmcnt(0)
	v_fmac_f64_e32 v[44:45], v[66:67], v[70:71]
	ds_read_b64 v[70:71], v127 offset:536
	v_mul_f64 v[66:67], v[32:33], v[62:63]
	v_mul_f64 v[66:67], v[100:101], v[66:67]
	s_waitcnt lgkmcnt(0)
	v_fmac_f64_e32 v[44:45], v[66:67], v[70:71]
	ds_read_b64 v[70:71], v127 offset:544
	v_mul_f64 v[66:67], v[26:27], v[62:63]
	v_mul_f64 v[66:67], v[114:115], v[66:67]
	;; [unrolled: 1-line block ×4, first 2 shown]
	s_waitcnt lgkmcnt(0)
	v_fmac_f64_e32 v[44:45], v[66:67], v[70:71]
	ds_read_b64 v[66:67], v127 offset:552
	s_waitcnt lgkmcnt(0)
	v_fmac_f64_e32 v[44:45], v[62:63], v[66:67]
	ds_read_b64 v[66:67], v127 offset:560
	v_mul_f64 v[62:63], v[40:41], v[56:57]
	v_mul_f64 v[62:63], v[92:93], v[62:63]
	s_waitcnt lgkmcnt(0)
	v_fmac_f64_e32 v[44:45], v[62:63], v[66:67]
	ds_read_b64 v[66:67], v127 offset:568
	v_mul_f64 v[62:63], v[36:37], v[56:57]
	v_mul_f64 v[62:63], v[104:105], v[62:63]
	s_waitcnt lgkmcnt(0)
	v_fmac_f64_e32 v[44:45], v[62:63], v[66:67]
	ds_read_b64 v[66:67], v127 offset:576
	v_mul_f64 v[62:63], v[32:33], v[56:57]
	v_mul_f64 v[62:63], v[100:101], v[62:63]
	s_waitcnt lgkmcnt(0)
	v_fmac_f64_e32 v[44:45], v[62:63], v[66:67]
	ds_read_b64 v[66:67], v127 offset:584
	v_mul_f64 v[62:63], v[26:27], v[56:57]
	v_mul_f64 v[62:63], v[114:115], v[62:63]
	v_mul_f64 v[56:57], v[22:23], v[56:57]
	v_mul_f64 v[56:57], v[110:111], v[56:57]
	s_waitcnt lgkmcnt(0)
	v_fmac_f64_e32 v[44:45], v[62:63], v[66:67]
	ds_read_b64 v[62:63], v127 offset:592
	s_waitcnt lgkmcnt(0)
	v_fmac_f64_e32 v[44:45], v[56:57], v[62:63]
	ds_read_b64 v[56:57], v126 offset:96
	ds_read_b64 v[62:63], v252 offset:96
	;; [unrolled: 1-line block ×3, first 2 shown]
	s_waitcnt lgkmcnt(1)
	v_mul_f64 v[56:57], v[56:57], v[62:63]
	v_mul_f64 v[62:63], v[28:29], v[56:57]
	v_mul_f64 v[62:63], v[30:31], v[62:63]
	v_mul_f64 v[66:67], v[40:41], v[62:63]
	v_mul_f64 v[66:67], v[92:93], v[66:67]
	s_waitcnt lgkmcnt(0)
	v_fmac_f64_e32 v[44:45], v[70:71], v[66:67]
	ds_read_b64 v[70:71], v127 offset:608
	v_mul_f64 v[66:67], v[36:37], v[62:63]
	v_mul_f64 v[66:67], v[104:105], v[66:67]
	s_waitcnt lgkmcnt(0)
	v_fmac_f64_e32 v[44:45], v[70:71], v[66:67]
	ds_read_b64 v[70:71], v127 offset:616
	v_mul_f64 v[66:67], v[32:33], v[62:63]
	v_mul_f64 v[66:67], v[100:101], v[66:67]
	s_waitcnt lgkmcnt(0)
	v_fmac_f64_e32 v[44:45], v[70:71], v[66:67]
	ds_read_b64 v[70:71], v127 offset:624
	v_mul_f64 v[66:67], v[26:27], v[62:63]
	v_mul_f64 v[66:67], v[114:115], v[66:67]
	v_mul_f64 v[62:63], v[22:23], v[62:63]
	v_mul_f64 v[62:63], v[110:111], v[62:63]
	s_waitcnt lgkmcnt(0)
	v_fmac_f64_e32 v[44:45], v[70:71], v[66:67]
	ds_read_b64 v[66:67], v127 offset:632
	ds_read_b64 v[70:71], v127 offset:640
	s_waitcnt lgkmcnt(1)
	v_fmac_f64_e32 v[44:45], v[62:63], v[66:67]
	v_mul_f64 v[62:63], v[12:13], v[56:57]
	v_mul_f64 v[62:63], v[14:15], v[62:63]
	v_mul_f64 v[66:67], v[40:41], v[62:63]
	v_mul_f64 v[66:67], v[92:93], v[66:67]
	s_waitcnt lgkmcnt(0)
	v_fmac_f64_e32 v[44:45], v[66:67], v[70:71]
	ds_read_b64 v[70:71], v127 offset:648
	v_mul_f64 v[66:67], v[36:37], v[62:63]
	v_mul_f64 v[66:67], v[104:105], v[66:67]
	s_waitcnt lgkmcnt(0)
	v_fmac_f64_e32 v[44:45], v[66:67], v[70:71]
	ds_read_b64 v[70:71], v127 offset:656
	v_mul_f64 v[66:67], v[32:33], v[62:63]
	v_mul_f64 v[66:67], v[100:101], v[66:67]
	s_waitcnt lgkmcnt(0)
	v_fmac_f64_e32 v[44:45], v[66:67], v[70:71]
	ds_read_b64 v[70:71], v127 offset:664
	v_mul_f64 v[66:67], v[26:27], v[62:63]
	v_mul_f64 v[66:67], v[114:115], v[66:67]
	v_mul_f64 v[62:63], v[22:23], v[62:63]
	v_mul_f64 v[62:63], v[110:111], v[62:63]
	s_waitcnt lgkmcnt(0)
	v_fmac_f64_e32 v[44:45], v[66:67], v[70:71]
	ds_read_b64 v[66:67], v127 offset:672
	ds_read_b64 v[70:71], v127 offset:680
	s_waitcnt lgkmcnt(1)
	v_fmac_f64_e32 v[44:45], v[62:63], v[66:67]
	v_mul_f64 v[62:63], v[8:9], v[56:57]
	v_mul_f64 v[62:63], v[10:11], v[62:63]
	v_mul_f64 v[66:67], v[40:41], v[62:63]
	v_mul_f64 v[66:67], v[92:93], v[66:67]
	;; [unrolled: 27-line block ×3, first 2 shown]
	s_waitcnt lgkmcnt(0)
	v_fmac_f64_e32 v[44:45], v[66:67], v[70:71]
	ds_read_b64 v[70:71], v127 offset:728
	v_mul_f64 v[66:67], v[36:37], v[62:63]
	v_mul_f64 v[66:67], v[104:105], v[66:67]
	;; [unrolled: 1-line block ×4, first 2 shown]
	s_waitcnt lgkmcnt(0)
	v_fmac_f64_e32 v[44:45], v[66:67], v[70:71]
	ds_read_b64 v[70:71], v127 offset:736
	v_mul_f64 v[66:67], v[32:33], v[62:63]
	v_mul_f64 v[66:67], v[100:101], v[66:67]
	s_waitcnt lgkmcnt(0)
	v_fmac_f64_e32 v[44:45], v[66:67], v[70:71]
	ds_read_b64 v[70:71], v127 offset:744
	v_mul_f64 v[66:67], v[26:27], v[62:63]
	v_mul_f64 v[66:67], v[114:115], v[66:67]
	;; [unrolled: 1-line block ×4, first 2 shown]
	s_waitcnt lgkmcnt(0)
	v_fmac_f64_e32 v[44:45], v[66:67], v[70:71]
	ds_read_b64 v[66:67], v127 offset:752
	s_waitcnt lgkmcnt(0)
	v_fmac_f64_e32 v[44:45], v[62:63], v[66:67]
	ds_read_b64 v[66:67], v127 offset:760
	v_mul_f64 v[62:63], v[40:41], v[56:57]
	v_mul_f64 v[62:63], v[92:93], v[62:63]
	s_waitcnt lgkmcnt(0)
	v_fmac_f64_e32 v[44:45], v[62:63], v[66:67]
	ds_read_b64 v[66:67], v127 offset:768
	v_mul_f64 v[62:63], v[36:37], v[56:57]
	v_mul_f64 v[62:63], v[104:105], v[62:63]
	s_waitcnt lgkmcnt(0)
	v_fmac_f64_e32 v[44:45], v[62:63], v[66:67]
	ds_read_b64 v[66:67], v127 offset:776
	v_mul_f64 v[62:63], v[32:33], v[56:57]
	v_mul_f64 v[62:63], v[100:101], v[62:63]
	s_waitcnt lgkmcnt(0)
	v_fmac_f64_e32 v[44:45], v[62:63], v[66:67]
	ds_read_b64 v[66:67], v127 offset:784
	v_mul_f64 v[62:63], v[26:27], v[56:57]
	v_mul_f64 v[62:63], v[114:115], v[62:63]
	v_mul_f64 v[56:57], v[22:23], v[56:57]
	v_mul_f64 v[56:57], v[110:111], v[56:57]
	s_waitcnt lgkmcnt(0)
	v_fmac_f64_e32 v[44:45], v[62:63], v[66:67]
	ds_read_b64 v[62:63], v127 offset:792
	s_waitcnt lgkmcnt(0)
	v_fmac_f64_e32 v[44:45], v[56:57], v[62:63]
	ds_read_b64 v[56:57], v126 offset:128
	ds_read_b64 v[62:63], v252 offset:128
	s_waitcnt lgkmcnt(0)
	v_mul_f64 v[56:57], v[56:57], v[62:63]
	ds_read_b64 v[62:63], v127 offset:800
	v_mul_f64 v[28:29], v[28:29], v[56:57]
	v_mul_f64 v[28:29], v[30:31], v[28:29]
	v_mul_f64 v[30:31], v[40:41], v[28:29]
	v_mul_f64 v[30:31], v[92:93], v[30:31]
	s_waitcnt lgkmcnt(0)
	v_fmac_f64_e32 v[44:45], v[62:63], v[30:31]
	ds_read_b64 v[62:63], v127 offset:808
	v_mul_f64 v[30:31], v[36:37], v[28:29]
	v_mul_f64 v[30:31], v[104:105], v[30:31]
	v_mul_f64 v[12:13], v[12:13], v[56:57]
	v_mul_f64 v[12:13], v[14:15], v[12:13]
	s_waitcnt lgkmcnt(0)
	v_fmac_f64_e32 v[44:45], v[62:63], v[30:31]
	;; [unrolled: 7-line block ×6, first 2 shown]
	ds_read_b64 v[28:29], v127 offset:848
	v_mul_f64 v[14:15], v[36:37], v[12:13]
	v_mul_f64 v[14:15], v[104:105], v[14:15]
	s_waitcnt lgkmcnt(0)
	v_fmac_f64_e32 v[44:45], v[14:15], v[28:29]
	ds_read_b64 v[28:29], v127 offset:856
	v_mul_f64 v[14:15], v[32:33], v[12:13]
	v_mul_f64 v[14:15], v[100:101], v[14:15]
	s_waitcnt lgkmcnt(0)
	v_fmac_f64_e32 v[44:45], v[14:15], v[28:29]
	ds_read_b64 v[28:29], v127 offset:864
	v_mul_f64 v[14:15], v[26:27], v[12:13]
	v_mul_f64 v[14:15], v[114:115], v[14:15]
	;; [unrolled: 1-line block ×4, first 2 shown]
	s_waitcnt lgkmcnt(0)
	v_fmac_f64_e32 v[44:45], v[14:15], v[28:29]
	ds_read_b64 v[14:15], v127 offset:872
	s_waitcnt lgkmcnt(0)
	v_fmac_f64_e32 v[44:45], v[12:13], v[14:15]
	ds_read_b64 v[12:13], v127 offset:880
	;; [unrolled: 3-line block ×3, first 2 shown]
	v_mul_f64 v[10:11], v[36:37], v[8:9]
	v_mul_f64 v[10:11], v[104:105], v[10:11]
	s_waitcnt lgkmcnt(0)
	v_fmac_f64_e32 v[44:45], v[10:11], v[12:13]
	ds_read_b64 v[12:13], v127 offset:896
	v_mul_f64 v[10:11], v[32:33], v[8:9]
	v_mul_f64 v[10:11], v[100:101], v[10:11]
	s_waitcnt lgkmcnt(0)
	v_fmac_f64_e32 v[44:45], v[10:11], v[12:13]
	ds_read_b64 v[12:13], v127 offset:904
	v_mul_f64 v[10:11], v[26:27], v[8:9]
	v_mul_f64 v[10:11], v[114:115], v[10:11]
	;; [unrolled: 1-line block ×4, first 2 shown]
	s_waitcnt lgkmcnt(0)
	v_fmac_f64_e32 v[44:45], v[10:11], v[12:13]
	ds_read_b64 v[10:11], v127 offset:912
	s_waitcnt lgkmcnt(0)
	v_fmac_f64_e32 v[44:45], v[8:9], v[10:11]
	ds_read_b64 v[8:9], v127 offset:920
	;; [unrolled: 3-line block ×3, first 2 shown]
	v_mul_f64 v[6:7], v[36:37], v[4:5]
	v_mul_f64 v[6:7], v[104:105], v[6:7]
	s_waitcnt lgkmcnt(0)
	v_fmac_f64_e32 v[44:45], v[6:7], v[8:9]
	ds_read_b64 v[8:9], v127 offset:936
	v_mul_f64 v[6:7], v[32:33], v[4:5]
	v_mul_f64 v[6:7], v[100:101], v[6:7]
	s_waitcnt lgkmcnt(0)
	v_fmac_f64_e32 v[44:45], v[6:7], v[8:9]
	ds_read_b64 v[8:9], v127 offset:944
	v_mul_f64 v[6:7], v[26:27], v[4:5]
	v_mul_f64 v[6:7], v[114:115], v[6:7]
	;; [unrolled: 1-line block ×4, first 2 shown]
	s_waitcnt lgkmcnt(0)
	v_fmac_f64_e32 v[44:45], v[6:7], v[8:9]
	ds_read_b64 v[6:7], v127 offset:952
	ds_read_b64 v[8:9], v127 offset:960
	s_waitcnt lgkmcnt(1)
	v_fmac_f64_e32 v[44:45], v[4:5], v[6:7]
	v_mul_f64 v[4:5], v[48:49], v[56:57]
	v_mul_f64 v[4:5], v[52:53], v[4:5]
	;; [unrolled: 1-line block ×4, first 2 shown]
	s_waitcnt lgkmcnt(0)
	v_fmac_f64_e32 v[44:45], v[6:7], v[8:9]
	ds_read_b64 v[8:9], v127 offset:968
	v_mul_f64 v[6:7], v[36:37], v[4:5]
	v_mul_f64 v[6:7], v[104:105], v[6:7]
	s_waitcnt lgkmcnt(0)
	v_fmac_f64_e32 v[44:45], v[6:7], v[8:9]
	ds_read_b64 v[8:9], v127 offset:976
	v_mul_f64 v[6:7], v[32:33], v[4:5]
	v_mul_f64 v[6:7], v[100:101], v[6:7]
	;; [unrolled: 5-line block ×3, first 2 shown]
	v_mul_f64 v[4:5], v[22:23], v[4:5]
	v_mul_f64 v[4:5], v[110:111], v[4:5]
	s_waitcnt lgkmcnt(0)
	v_fmac_f64_e32 v[44:45], v[6:7], v[8:9]
	ds_read_b64 v[6:7], v127 offset:992
	s_waitcnt lgkmcnt(0)
	v_fmac_f64_e32 v[44:45], v[4:5], v[6:7]
	global_store_dwordx2 v[250:251], v[44:45], off
	ds_read_b64 v[56:57], v125
	ds_read_b64 v[62:63], v127 offset:1024
	ds_read_b64 v[48:49], v125 offset:32
	;; [unrolled: 1-line block ×9, first 2 shown]
	ds_read_b64 v[10:11], v124
	ds_read_b64 v[8:9], v124 offset:32
	ds_read_b64 v[6:7], v124 offset:64
	;; [unrolled: 1-line block ×4, first 2 shown]
	ds_read_b64 v[12:13], v126
	ds_read_b64 v[14:15], v126 offset:32
	ds_read_b64 v[28:29], v252
	ds_read_b64 v[30:31], v252 offset:32
	;; [unrolled: 2-line block ×3, first 2 shown]
	ds_read_b64 v[84:85], v127 offset:16
	ds_read_b64 v[88:89], v127 offset:24
	;; [unrolled: 1-line block ×6, first 2 shown]
	s_waitcnt lgkmcnt(9)
	v_mul_f64 v[12:13], v[12:13], v[28:29]
	v_mul_f64 v[28:29], v[10:11], v[12:13]
	;; [unrolled: 1-line block ×5, first 2 shown]
	s_waitcnt lgkmcnt(7)
	v_fma_f64 v[66:67], v[74:75], v[66:67], 0
	v_mul_f64 v[74:75], v[48:49], v[28:29]
	v_mul_f64 v[74:75], v[52:53], v[74:75]
	s_waitcnt lgkmcnt(6)
	v_fmac_f64_e32 v[66:67], v[78:79], v[74:75]
	v_mul_f64 v[74:75], v[40:41], v[28:29]
	v_mul_f64 v[74:75], v[44:45], v[74:75]
	s_waitcnt lgkmcnt(5)
	v_fmac_f64_e32 v[66:67], v[84:85], v[74:75]
	v_mul_f64 v[74:75], v[32:33], v[28:29]
	v_mul_f64 v[74:75], v[36:37], v[74:75]
	;; [unrolled: 1-line block ×3, first 2 shown]
	s_waitcnt lgkmcnt(4)
	v_fmac_f64_e32 v[66:67], v[88:89], v[74:75]
	v_mul_f64 v[28:29], v[26:27], v[28:29]
	s_waitcnt lgkmcnt(3)
	v_fmac_f64_e32 v[66:67], v[28:29], v[92:93]
	v_mul_f64 v[28:29], v[8:9], v[12:13]
	v_mul_f64 v[28:29], v[52:53], v[28:29]
	;; [unrolled: 1-line block ×4, first 2 shown]
	s_waitcnt lgkmcnt(2)
	v_fmac_f64_e32 v[66:67], v[74:75], v[94:95]
	v_mul_f64 v[74:75], v[48:49], v[28:29]
	v_mul_f64 v[74:75], v[52:53], v[74:75]
	ds_read_b64 v[78:79], v127 offset:64
	s_waitcnt lgkmcnt(2)
	v_fmac_f64_e32 v[66:67], v[74:75], v[96:97]
	v_mul_f64 v[74:75], v[40:41], v[28:29]
	v_mul_f64 v[74:75], v[44:45], v[74:75]
	s_waitcnt lgkmcnt(1)
	v_fmac_f64_e32 v[66:67], v[74:75], v[98:99]
	v_mul_f64 v[74:75], v[32:33], v[28:29]
	v_mul_f64 v[74:75], v[36:37], v[74:75]
	s_waitcnt lgkmcnt(0)
	v_fmac_f64_e32 v[66:67], v[74:75], v[78:79]
	ds_read_b64 v[74:75], v127 offset:72
	ds_read_b64 v[78:79], v127 offset:80
	v_mul_f64 v[28:29], v[22:23], v[28:29]
	v_mul_f64 v[28:29], v[26:27], v[28:29]
	s_waitcnt lgkmcnt(1)
	v_fmac_f64_e32 v[66:67], v[28:29], v[74:75]
	v_mul_f64 v[28:29], v[6:7], v[12:13]
	v_mul_f64 v[28:29], v[44:45], v[28:29]
	;; [unrolled: 1-line block ×4, first 2 shown]
	s_waitcnt lgkmcnt(0)
	v_fmac_f64_e32 v[66:67], v[74:75], v[78:79]
	ds_read_b64 v[78:79], v127 offset:88
	v_mul_f64 v[74:75], v[48:49], v[28:29]
	v_mul_f64 v[74:75], v[52:53], v[74:75]
	s_waitcnt lgkmcnt(0)
	v_fmac_f64_e32 v[66:67], v[74:75], v[78:79]
	ds_read_b64 v[78:79], v127 offset:96
	v_mul_f64 v[74:75], v[40:41], v[28:29]
	v_mul_f64 v[74:75], v[44:45], v[74:75]
	;; [unrolled: 5-line block ×3, first 2 shown]
	v_mul_f64 v[28:29], v[22:23], v[28:29]
	v_mul_f64 v[28:29], v[26:27], v[28:29]
	s_waitcnt lgkmcnt(0)
	v_fmac_f64_e32 v[66:67], v[74:75], v[78:79]
	ds_read_b64 v[74:75], v127 offset:112
	ds_read_b64 v[78:79], v127 offset:120
	s_waitcnt lgkmcnt(1)
	v_fmac_f64_e32 v[66:67], v[28:29], v[74:75]
	v_mul_f64 v[28:29], v[4:5], v[12:13]
	v_mul_f64 v[28:29], v[36:37], v[28:29]
	;; [unrolled: 1-line block ×4, first 2 shown]
	s_waitcnt lgkmcnt(0)
	v_fmac_f64_e32 v[66:67], v[74:75], v[78:79]
	ds_read_b64 v[78:79], v127 offset:128
	v_mul_f64 v[74:75], v[48:49], v[28:29]
	v_mul_f64 v[74:75], v[52:53], v[74:75]
	;; [unrolled: 1-line block ×4, first 2 shown]
	s_waitcnt lgkmcnt(0)
	v_fmac_f64_e32 v[66:67], v[74:75], v[78:79]
	ds_read_b64 v[78:79], v127 offset:136
	v_mul_f64 v[74:75], v[40:41], v[28:29]
	v_mul_f64 v[74:75], v[44:45], v[74:75]
	s_waitcnt lgkmcnt(0)
	v_fmac_f64_e32 v[66:67], v[74:75], v[78:79]
	ds_read_b64 v[78:79], v127 offset:144
	v_mul_f64 v[74:75], v[32:33], v[28:29]
	v_mul_f64 v[74:75], v[36:37], v[74:75]
	;; [unrolled: 1-line block ×4, first 2 shown]
	s_waitcnt lgkmcnt(0)
	v_fmac_f64_e32 v[66:67], v[74:75], v[78:79]
	ds_read_b64 v[74:75], v127 offset:152
	s_waitcnt lgkmcnt(0)
	v_fmac_f64_e32 v[66:67], v[28:29], v[74:75]
	ds_read_b64 v[74:75], v127 offset:160
	v_mul_f64 v[28:29], v[56:57], v[12:13]
	v_mul_f64 v[28:29], v[62:63], v[28:29]
	s_waitcnt lgkmcnt(0)
	v_fmac_f64_e32 v[66:67], v[28:29], v[74:75]
	ds_read_b64 v[74:75], v127 offset:168
	v_mul_f64 v[28:29], v[48:49], v[12:13]
	v_mul_f64 v[28:29], v[52:53], v[28:29]
	s_waitcnt lgkmcnt(0)
	v_fmac_f64_e32 v[66:67], v[28:29], v[74:75]
	ds_read_b64 v[74:75], v127 offset:176
	v_mul_f64 v[28:29], v[40:41], v[12:13]
	v_mul_f64 v[28:29], v[44:45], v[28:29]
	s_waitcnt lgkmcnt(0)
	v_fmac_f64_e32 v[66:67], v[28:29], v[74:75]
	ds_read_b64 v[74:75], v127 offset:184
	v_mul_f64 v[28:29], v[32:33], v[12:13]
	v_mul_f64 v[28:29], v[36:37], v[28:29]
	v_mul_f64 v[12:13], v[22:23], v[12:13]
	v_mul_f64 v[12:13], v[26:27], v[12:13]
	s_waitcnt lgkmcnt(0)
	v_fmac_f64_e32 v[66:67], v[28:29], v[74:75]
	ds_read_b64 v[28:29], v127 offset:192
	s_waitcnt lgkmcnt(0)
	v_fmac_f64_e32 v[66:67], v[12:13], v[28:29]
	v_mul_f64 v[12:13], v[14:15], v[30:31]
	ds_read_b64 v[30:31], v127 offset:200
	v_mul_f64 v[14:15], v[10:11], v[12:13]
	v_mul_f64 v[14:15], v[62:63], v[14:15]
	v_mul_f64 v[28:29], v[56:57], v[14:15]
	v_mul_f64 v[28:29], v[62:63], v[28:29]
	s_waitcnt lgkmcnt(0)
	v_fmac_f64_e32 v[66:67], v[30:31], v[28:29]
	ds_read_b64 v[30:31], v127 offset:208
	v_mul_f64 v[28:29], v[48:49], v[14:15]
	v_mul_f64 v[28:29], v[52:53], v[28:29]
	s_waitcnt lgkmcnt(0)
	v_fmac_f64_e32 v[66:67], v[30:31], v[28:29]
	ds_read_b64 v[30:31], v127 offset:216
	v_mul_f64 v[28:29], v[40:41], v[14:15]
	v_mul_f64 v[28:29], v[44:45], v[28:29]
	s_waitcnt lgkmcnt(0)
	v_fmac_f64_e32 v[66:67], v[30:31], v[28:29]
	ds_read_b64 v[30:31], v127 offset:224
	v_mul_f64 v[28:29], v[32:33], v[14:15]
	v_mul_f64 v[28:29], v[36:37], v[28:29]
	v_mul_f64 v[14:15], v[22:23], v[14:15]
	v_mul_f64 v[14:15], v[26:27], v[14:15]
	s_waitcnt lgkmcnt(0)
	v_fmac_f64_e32 v[66:67], v[30:31], v[28:29]
	ds_read_b64 v[28:29], v127 offset:232
	ds_read_b64 v[30:31], v127 offset:240
	s_waitcnt lgkmcnt(1)
	v_fmac_f64_e32 v[66:67], v[14:15], v[28:29]
	v_mul_f64 v[14:15], v[8:9], v[12:13]
	v_mul_f64 v[14:15], v[52:53], v[14:15]
	v_mul_f64 v[28:29], v[56:57], v[14:15]
	v_mul_f64 v[28:29], v[62:63], v[28:29]
	s_waitcnt lgkmcnt(0)
	v_fmac_f64_e32 v[66:67], v[28:29], v[30:31]
	ds_read_b64 v[30:31], v127 offset:248
	v_mul_f64 v[28:29], v[48:49], v[14:15]
	v_mul_f64 v[28:29], v[52:53], v[28:29]
	s_waitcnt lgkmcnt(0)
	v_fmac_f64_e32 v[66:67], v[28:29], v[30:31]
	ds_read_b64 v[30:31], v127 offset:256
	v_mul_f64 v[28:29], v[40:41], v[14:15]
	v_mul_f64 v[28:29], v[44:45], v[28:29]
	s_waitcnt lgkmcnt(0)
	v_fmac_f64_e32 v[66:67], v[28:29], v[30:31]
	ds_read_b64 v[30:31], v127 offset:264
	v_mul_f64 v[28:29], v[32:33], v[14:15]
	v_mul_f64 v[28:29], v[36:37], v[28:29]
	v_mul_f64 v[14:15], v[22:23], v[14:15]
	v_mul_f64 v[14:15], v[26:27], v[14:15]
	s_waitcnt lgkmcnt(0)
	v_fmac_f64_e32 v[66:67], v[28:29], v[30:31]
	ds_read_b64 v[28:29], v127 offset:272
	ds_read_b64 v[30:31], v127 offset:280
	s_waitcnt lgkmcnt(1)
	v_fmac_f64_e32 v[66:67], v[14:15], v[28:29]
	;; [unrolled: 27-line block ×3, first 2 shown]
	v_mul_f64 v[14:15], v[4:5], v[12:13]
	v_mul_f64 v[14:15], v[36:37], v[14:15]
	;; [unrolled: 1-line block ×4, first 2 shown]
	s_waitcnt lgkmcnt(0)
	v_fmac_f64_e32 v[66:67], v[28:29], v[30:31]
	ds_read_b64 v[30:31], v127 offset:328
	v_mul_f64 v[28:29], v[48:49], v[14:15]
	v_mul_f64 v[28:29], v[52:53], v[28:29]
	;; [unrolled: 1-line block ×4, first 2 shown]
	s_waitcnt lgkmcnt(0)
	v_fmac_f64_e32 v[66:67], v[28:29], v[30:31]
	ds_read_b64 v[30:31], v127 offset:336
	v_mul_f64 v[28:29], v[40:41], v[14:15]
	v_mul_f64 v[28:29], v[44:45], v[28:29]
	s_waitcnt lgkmcnt(0)
	v_fmac_f64_e32 v[66:67], v[28:29], v[30:31]
	ds_read_b64 v[30:31], v127 offset:344
	v_mul_f64 v[28:29], v[32:33], v[14:15]
	v_mul_f64 v[28:29], v[36:37], v[28:29]
	;; [unrolled: 1-line block ×4, first 2 shown]
	s_waitcnt lgkmcnt(0)
	v_fmac_f64_e32 v[66:67], v[28:29], v[30:31]
	ds_read_b64 v[28:29], v127 offset:352
	s_waitcnt lgkmcnt(0)
	v_fmac_f64_e32 v[66:67], v[14:15], v[28:29]
	ds_read_b64 v[28:29], v127 offset:360
	v_mul_f64 v[14:15], v[56:57], v[12:13]
	v_mul_f64 v[14:15], v[62:63], v[14:15]
	s_waitcnt lgkmcnt(0)
	v_fmac_f64_e32 v[66:67], v[14:15], v[28:29]
	ds_read_b64 v[28:29], v127 offset:368
	v_mul_f64 v[14:15], v[48:49], v[12:13]
	v_mul_f64 v[14:15], v[52:53], v[14:15]
	;; [unrolled: 5-line block ×4, first 2 shown]
	v_mul_f64 v[12:13], v[22:23], v[12:13]
	v_mul_f64 v[12:13], v[26:27], v[12:13]
	s_waitcnt lgkmcnt(0)
	v_fmac_f64_e32 v[66:67], v[14:15], v[28:29]
	ds_read_b64 v[14:15], v127 offset:392
	s_waitcnt lgkmcnt(0)
	v_fmac_f64_e32 v[66:67], v[12:13], v[14:15]
	ds_read_b64 v[12:13], v126 offset:64
	ds_read_b64 v[14:15], v252 offset:64
	;; [unrolled: 1-line block ×3, first 2 shown]
	s_waitcnt lgkmcnt(1)
	v_mul_f64 v[12:13], v[12:13], v[14:15]
	v_mul_f64 v[14:15], v[10:11], v[12:13]
	;; [unrolled: 1-line block ×5, first 2 shown]
	s_waitcnt lgkmcnt(0)
	v_fmac_f64_e32 v[66:67], v[30:31], v[28:29]
	ds_read_b64 v[30:31], v127 offset:408
	v_mul_f64 v[28:29], v[48:49], v[14:15]
	v_mul_f64 v[28:29], v[52:53], v[28:29]
	s_waitcnt lgkmcnt(0)
	v_fmac_f64_e32 v[66:67], v[30:31], v[28:29]
	ds_read_b64 v[30:31], v127 offset:416
	v_mul_f64 v[28:29], v[40:41], v[14:15]
	v_mul_f64 v[28:29], v[44:45], v[28:29]
	s_waitcnt lgkmcnt(0)
	v_fmac_f64_e32 v[66:67], v[30:31], v[28:29]
	ds_read_b64 v[30:31], v127 offset:424
	v_mul_f64 v[28:29], v[32:33], v[14:15]
	v_mul_f64 v[28:29], v[36:37], v[28:29]
	v_mul_f64 v[14:15], v[22:23], v[14:15]
	v_mul_f64 v[14:15], v[26:27], v[14:15]
	s_waitcnt lgkmcnt(0)
	v_fmac_f64_e32 v[66:67], v[30:31], v[28:29]
	ds_read_b64 v[28:29], v127 offset:432
	ds_read_b64 v[30:31], v127 offset:440
	s_waitcnt lgkmcnt(1)
	v_fmac_f64_e32 v[66:67], v[14:15], v[28:29]
	v_mul_f64 v[14:15], v[8:9], v[12:13]
	v_mul_f64 v[14:15], v[52:53], v[14:15]
	v_mul_f64 v[28:29], v[56:57], v[14:15]
	v_mul_f64 v[28:29], v[62:63], v[28:29]
	s_waitcnt lgkmcnt(0)
	v_fmac_f64_e32 v[66:67], v[28:29], v[30:31]
	ds_read_b64 v[30:31], v127 offset:448
	v_mul_f64 v[28:29], v[48:49], v[14:15]
	v_mul_f64 v[28:29], v[52:53], v[28:29]
	s_waitcnt lgkmcnt(0)
	v_fmac_f64_e32 v[66:67], v[28:29], v[30:31]
	ds_read_b64 v[30:31], v127 offset:456
	v_mul_f64 v[28:29], v[40:41], v[14:15]
	v_mul_f64 v[28:29], v[44:45], v[28:29]
	s_waitcnt lgkmcnt(0)
	v_fmac_f64_e32 v[66:67], v[28:29], v[30:31]
	ds_read_b64 v[30:31], v127 offset:464
	v_mul_f64 v[28:29], v[32:33], v[14:15]
	v_mul_f64 v[28:29], v[36:37], v[28:29]
	v_mul_f64 v[14:15], v[22:23], v[14:15]
	v_mul_f64 v[14:15], v[26:27], v[14:15]
	s_waitcnt lgkmcnt(0)
	v_fmac_f64_e32 v[66:67], v[28:29], v[30:31]
	ds_read_b64 v[28:29], v127 offset:472
	ds_read_b64 v[30:31], v127 offset:480
	s_waitcnt lgkmcnt(1)
	v_fmac_f64_e32 v[66:67], v[14:15], v[28:29]
	v_mul_f64 v[14:15], v[6:7], v[12:13]
	v_mul_f64 v[14:15], v[44:45], v[14:15]
	v_mul_f64 v[28:29], v[56:57], v[14:15]
	v_mul_f64 v[28:29], v[62:63], v[28:29]
	;; [unrolled: 27-line block ×3, first 2 shown]
	s_waitcnt lgkmcnt(0)
	v_fmac_f64_e32 v[66:67], v[28:29], v[30:31]
	ds_read_b64 v[30:31], v127 offset:528
	v_mul_f64 v[28:29], v[48:49], v[14:15]
	v_mul_f64 v[28:29], v[52:53], v[28:29]
	;; [unrolled: 1-line block ×4, first 2 shown]
	s_waitcnt lgkmcnt(0)
	v_fmac_f64_e32 v[66:67], v[28:29], v[30:31]
	ds_read_b64 v[30:31], v127 offset:536
	v_mul_f64 v[28:29], v[40:41], v[14:15]
	v_mul_f64 v[28:29], v[44:45], v[28:29]
	s_waitcnt lgkmcnt(0)
	v_fmac_f64_e32 v[66:67], v[28:29], v[30:31]
	ds_read_b64 v[30:31], v127 offset:544
	v_mul_f64 v[28:29], v[32:33], v[14:15]
	v_mul_f64 v[28:29], v[36:37], v[28:29]
	;; [unrolled: 1-line block ×4, first 2 shown]
	s_waitcnt lgkmcnt(0)
	v_fmac_f64_e32 v[66:67], v[28:29], v[30:31]
	ds_read_b64 v[28:29], v127 offset:552
	s_waitcnt lgkmcnt(0)
	v_fmac_f64_e32 v[66:67], v[14:15], v[28:29]
	ds_read_b64 v[28:29], v127 offset:560
	v_mul_f64 v[14:15], v[56:57], v[12:13]
	v_mul_f64 v[14:15], v[62:63], v[14:15]
	s_waitcnt lgkmcnt(0)
	v_fmac_f64_e32 v[66:67], v[14:15], v[28:29]
	ds_read_b64 v[28:29], v127 offset:568
	v_mul_f64 v[14:15], v[48:49], v[12:13]
	v_mul_f64 v[14:15], v[52:53], v[14:15]
	;; [unrolled: 5-line block ×4, first 2 shown]
	v_mul_f64 v[12:13], v[22:23], v[12:13]
	v_mul_f64 v[12:13], v[26:27], v[12:13]
	s_waitcnt lgkmcnt(0)
	v_fmac_f64_e32 v[66:67], v[14:15], v[28:29]
	ds_read_b64 v[14:15], v127 offset:592
	s_waitcnt lgkmcnt(0)
	v_fmac_f64_e32 v[66:67], v[12:13], v[14:15]
	ds_read_b64 v[12:13], v126 offset:96
	ds_read_b64 v[14:15], v252 offset:96
	;; [unrolled: 1-line block ×3, first 2 shown]
	s_waitcnt lgkmcnt(1)
	v_mul_f64 v[12:13], v[12:13], v[14:15]
	v_mul_f64 v[14:15], v[10:11], v[12:13]
	;; [unrolled: 1-line block ×5, first 2 shown]
	s_waitcnt lgkmcnt(0)
	v_fmac_f64_e32 v[66:67], v[30:31], v[28:29]
	ds_read_b64 v[30:31], v127 offset:608
	v_mul_f64 v[28:29], v[48:49], v[14:15]
	v_mul_f64 v[28:29], v[52:53], v[28:29]
	s_waitcnt lgkmcnt(0)
	v_fmac_f64_e32 v[66:67], v[30:31], v[28:29]
	ds_read_b64 v[30:31], v127 offset:616
	v_mul_f64 v[28:29], v[40:41], v[14:15]
	v_mul_f64 v[28:29], v[44:45], v[28:29]
	s_waitcnt lgkmcnt(0)
	v_fmac_f64_e32 v[66:67], v[30:31], v[28:29]
	ds_read_b64 v[30:31], v127 offset:624
	v_mul_f64 v[28:29], v[32:33], v[14:15]
	v_mul_f64 v[28:29], v[36:37], v[28:29]
	v_mul_f64 v[14:15], v[22:23], v[14:15]
	v_mul_f64 v[14:15], v[26:27], v[14:15]
	s_waitcnt lgkmcnt(0)
	v_fmac_f64_e32 v[66:67], v[30:31], v[28:29]
	ds_read_b64 v[28:29], v127 offset:632
	ds_read_b64 v[30:31], v127 offset:640
	s_waitcnt lgkmcnt(1)
	v_fmac_f64_e32 v[66:67], v[14:15], v[28:29]
	v_mul_f64 v[14:15], v[8:9], v[12:13]
	v_mul_f64 v[14:15], v[52:53], v[14:15]
	v_mul_f64 v[28:29], v[56:57], v[14:15]
	v_mul_f64 v[28:29], v[62:63], v[28:29]
	s_waitcnt lgkmcnt(0)
	v_fmac_f64_e32 v[66:67], v[28:29], v[30:31]
	ds_read_b64 v[30:31], v127 offset:648
	v_mul_f64 v[28:29], v[48:49], v[14:15]
	v_mul_f64 v[28:29], v[52:53], v[28:29]
	s_waitcnt lgkmcnt(0)
	v_fmac_f64_e32 v[66:67], v[28:29], v[30:31]
	ds_read_b64 v[30:31], v127 offset:656
	v_mul_f64 v[28:29], v[40:41], v[14:15]
	v_mul_f64 v[28:29], v[44:45], v[28:29]
	s_waitcnt lgkmcnt(0)
	v_fmac_f64_e32 v[66:67], v[28:29], v[30:31]
	ds_read_b64 v[30:31], v127 offset:664
	v_mul_f64 v[28:29], v[32:33], v[14:15]
	v_mul_f64 v[28:29], v[36:37], v[28:29]
	v_mul_f64 v[14:15], v[22:23], v[14:15]
	v_mul_f64 v[14:15], v[26:27], v[14:15]
	s_waitcnt lgkmcnt(0)
	v_fmac_f64_e32 v[66:67], v[28:29], v[30:31]
	ds_read_b64 v[28:29], v127 offset:672
	ds_read_b64 v[30:31], v127 offset:680
	s_waitcnt lgkmcnt(1)
	v_fmac_f64_e32 v[66:67], v[14:15], v[28:29]
	v_mul_f64 v[14:15], v[6:7], v[12:13]
	v_mul_f64 v[14:15], v[44:45], v[14:15]
	v_mul_f64 v[28:29], v[56:57], v[14:15]
	v_mul_f64 v[28:29], v[62:63], v[28:29]
	;; [unrolled: 27-line block ×3, first 2 shown]
	s_waitcnt lgkmcnt(0)
	v_fmac_f64_e32 v[66:67], v[28:29], v[30:31]
	ds_read_b64 v[30:31], v127 offset:728
	v_mul_f64 v[28:29], v[48:49], v[14:15]
	v_mul_f64 v[28:29], v[52:53], v[28:29]
	;; [unrolled: 1-line block ×4, first 2 shown]
	s_waitcnt lgkmcnt(0)
	v_fmac_f64_e32 v[66:67], v[28:29], v[30:31]
	ds_read_b64 v[30:31], v127 offset:736
	v_mul_f64 v[28:29], v[40:41], v[14:15]
	v_mul_f64 v[28:29], v[44:45], v[28:29]
	s_waitcnt lgkmcnt(0)
	v_fmac_f64_e32 v[66:67], v[28:29], v[30:31]
	ds_read_b64 v[30:31], v127 offset:744
	v_mul_f64 v[28:29], v[32:33], v[14:15]
	v_mul_f64 v[28:29], v[36:37], v[28:29]
	;; [unrolled: 1-line block ×4, first 2 shown]
	s_waitcnt lgkmcnt(0)
	v_fmac_f64_e32 v[66:67], v[28:29], v[30:31]
	ds_read_b64 v[28:29], v127 offset:752
	s_waitcnt lgkmcnt(0)
	v_fmac_f64_e32 v[66:67], v[14:15], v[28:29]
	ds_read_b64 v[28:29], v127 offset:760
	v_mul_f64 v[14:15], v[56:57], v[12:13]
	v_mul_f64 v[14:15], v[62:63], v[14:15]
	s_waitcnt lgkmcnt(0)
	v_fmac_f64_e32 v[66:67], v[14:15], v[28:29]
	ds_read_b64 v[28:29], v127 offset:768
	v_mul_f64 v[14:15], v[48:49], v[12:13]
	v_mul_f64 v[14:15], v[52:53], v[14:15]
	;; [unrolled: 5-line block ×4, first 2 shown]
	v_mul_f64 v[12:13], v[22:23], v[12:13]
	v_mul_f64 v[12:13], v[26:27], v[12:13]
	s_waitcnt lgkmcnt(0)
	v_fmac_f64_e32 v[66:67], v[14:15], v[28:29]
	ds_read_b64 v[14:15], v127 offset:792
	s_waitcnt lgkmcnt(0)
	v_fmac_f64_e32 v[66:67], v[12:13], v[14:15]
	ds_read_b64 v[12:13], v126 offset:128
	ds_read_b64 v[14:15], v252 offset:128
	;; [unrolled: 1-line block ×3, first 2 shown]
	s_waitcnt lgkmcnt(1)
	v_mul_f64 v[12:13], v[12:13], v[14:15]
	v_mul_f64 v[10:11], v[10:11], v[12:13]
	;; [unrolled: 1-line block ×5, first 2 shown]
	s_waitcnt lgkmcnt(0)
	v_fmac_f64_e32 v[66:67], v[28:29], v[14:15]
	ds_read_b64 v[28:29], v127 offset:808
	v_mul_f64 v[14:15], v[48:49], v[10:11]
	v_mul_f64 v[14:15], v[52:53], v[14:15]
	v_mul_f64 v[8:9], v[8:9], v[12:13]
	v_mul_f64 v[8:9], v[52:53], v[8:9]
	s_waitcnt lgkmcnt(0)
	v_fmac_f64_e32 v[66:67], v[28:29], v[14:15]
	ds_read_b64 v[28:29], v127 offset:816
	v_mul_f64 v[14:15], v[40:41], v[10:11]
	v_mul_f64 v[14:15], v[44:45], v[14:15]
	v_mul_f64 v[6:7], v[6:7], v[12:13]
	v_mul_f64 v[6:7], v[44:45], v[6:7]
	;; [unrolled: 7-line block ×3, first 2 shown]
	s_waitcnt lgkmcnt(0)
	v_fmac_f64_e32 v[66:67], v[28:29], v[14:15]
	ds_read_b64 v[14:15], v127 offset:832
	v_mul_f64 v[4:5], v[4:5], v[12:13]
	v_mul_f64 v[4:5], v[36:37], v[4:5]
	s_waitcnt lgkmcnt(0)
	v_fmac_f64_e32 v[66:67], v[10:11], v[14:15]
	ds_read_b64 v[14:15], v127 offset:840
	v_mul_f64 v[10:11], v[56:57], v[8:9]
	v_mul_f64 v[10:11], v[62:63], v[10:11]
	;; [unrolled: 5-line block ×5, first 2 shown]
	v_mul_f64 v[8:9], v[22:23], v[8:9]
	v_mul_f64 v[8:9], v[26:27], v[8:9]
	s_waitcnt lgkmcnt(0)
	v_fmac_f64_e32 v[66:67], v[10:11], v[14:15]
	ds_read_b64 v[10:11], v127 offset:872
	s_waitcnt lgkmcnt(0)
	v_fmac_f64_e32 v[66:67], v[8:9], v[10:11]
	ds_read_b64 v[10:11], v127 offset:880
	v_mul_f64 v[8:9], v[56:57], v[6:7]
	v_mul_f64 v[8:9], v[62:63], v[8:9]
	s_waitcnt lgkmcnt(0)
	v_fmac_f64_e32 v[66:67], v[8:9], v[10:11]
	ds_read_b64 v[10:11], v127 offset:888
	v_mul_f64 v[8:9], v[48:49], v[6:7]
	v_mul_f64 v[8:9], v[52:53], v[8:9]
	;; [unrolled: 5-line block ×4, first 2 shown]
	v_mul_f64 v[6:7], v[22:23], v[6:7]
	v_mul_f64 v[6:7], v[26:27], v[6:7]
	s_waitcnt lgkmcnt(0)
	v_fmac_f64_e32 v[66:67], v[8:9], v[10:11]
	ds_read_b64 v[8:9], v127 offset:912
	s_waitcnt lgkmcnt(0)
	v_fmac_f64_e32 v[66:67], v[6:7], v[8:9]
	ds_read_b64 v[8:9], v127 offset:920
	v_mul_f64 v[6:7], v[56:57], v[4:5]
	v_mul_f64 v[6:7], v[62:63], v[6:7]
	s_waitcnt lgkmcnt(0)
	v_fmac_f64_e32 v[66:67], v[6:7], v[8:9]
	ds_read_b64 v[8:9], v127 offset:928
	v_mul_f64 v[6:7], v[48:49], v[4:5]
	v_mul_f64 v[6:7], v[52:53], v[6:7]
	;; [unrolled: 5-line block ×4, first 2 shown]
	v_mul_f64 v[4:5], v[22:23], v[4:5]
	v_mul_f64 v[4:5], v[26:27], v[4:5]
	s_waitcnt lgkmcnt(0)
	v_fmac_f64_e32 v[66:67], v[6:7], v[8:9]
	ds_read_b64 v[6:7], v127 offset:952
	ds_read_b64 v[8:9], v127 offset:960
	s_waitcnt lgkmcnt(1)
	v_fmac_f64_e32 v[66:67], v[4:5], v[6:7]
	v_mul_f64 v[4:5], v[70:71], v[12:13]
	v_mul_f64 v[4:5], v[26:27], v[4:5]
	;; [unrolled: 1-line block ×4, first 2 shown]
	s_waitcnt lgkmcnt(0)
	v_fmac_f64_e32 v[66:67], v[6:7], v[8:9]
	ds_read_b64 v[8:9], v127 offset:968
	v_mul_f64 v[6:7], v[48:49], v[4:5]
	v_mul_f64 v[6:7], v[52:53], v[6:7]
	s_waitcnt lgkmcnt(0)
	v_fmac_f64_e32 v[66:67], v[6:7], v[8:9]
	ds_read_b64 v[8:9], v127 offset:976
	v_mul_f64 v[6:7], v[40:41], v[4:5]
	v_mul_f64 v[6:7], v[44:45], v[6:7]
	;; [unrolled: 5-line block ×3, first 2 shown]
	v_mul_f64 v[4:5], v[22:23], v[4:5]
	v_mul_f64 v[4:5], v[26:27], v[4:5]
	s_waitcnt lgkmcnt(0)
	v_fmac_f64_e32 v[66:67], v[6:7], v[8:9]
	ds_read_b64 v[6:7], v127 offset:992
	s_waitcnt lgkmcnt(0)
	v_fmac_f64_e32 v[66:67], v[4:5], v[6:7]
	global_store_dwordx2 v[254:255], v[66:67], off
	ds_read2_b64 v[114:117], v127 offset0:128 offset1:129
	ds_read_b64 v[40:41], v125
	ds_read_b64 v[36:37], v125 offset:32
	ds_read2_b64 v[110:113], v127 offset0:132 offset1:133
	ds_read_b64 v[32:33], v125 offset:64
	ds_read2_b64 v[104:107], v127 offset0:136 offset1:137
	;; [unrolled: 2-line block ×4, first 2 shown]
	ds_read_b64 v[10:11], v124
	ds_read_b64 v[8:9], v124 offset:32
	ds_read_b64 v[6:7], v124 offset:64
	;; [unrolled: 1-line block ×4, first 2 shown]
	ds_read_b64 v[12:13], v126
	ds_read_b64 v[14:15], v126 offset:32
	ds_read_b64 v[28:29], v252
	ds_read_b64 v[30:31], v252 offset:32
	ds_read_b64 v[52:53], v127
	ds_read_b64 v[56:57], v127 offset:8
	ds_read_b64 v[62:63], v127 offset:16
	ds_read_b64 v[66:67], v127 offset:24
	;; [unrolled: 1-line block ×6, first 2 shown]
	s_waitcnt lgkmcnt(9)
	v_mul_f64 v[12:13], v[12:13], v[28:29]
	v_mul_f64 v[28:29], v[10:11], v[12:13]
	;; [unrolled: 1-line block ×5, first 2 shown]
	s_waitcnt lgkmcnt(7)
	v_fma_f64 v[44:45], v[52:53], v[44:45], 0
	v_mul_f64 v[52:53], v[36:37], v[28:29]
	v_mul_f64 v[52:53], v[112:113], v[52:53]
	s_waitcnt lgkmcnt(6)
	v_fmac_f64_e32 v[44:45], v[56:57], v[52:53]
	v_mul_f64 v[52:53], v[32:33], v[28:29]
	v_mul_f64 v[52:53], v[106:107], v[52:53]
	s_waitcnt lgkmcnt(5)
	v_fmac_f64_e32 v[44:45], v[62:63], v[52:53]
	v_mul_f64 v[52:53], v[26:27], v[28:29]
	v_mul_f64 v[52:53], v[102:103], v[52:53]
	;; [unrolled: 1-line block ×3, first 2 shown]
	s_waitcnt lgkmcnt(4)
	v_fmac_f64_e32 v[44:45], v[66:67], v[52:53]
	v_mul_f64 v[28:29], v[94:95], v[28:29]
	s_waitcnt lgkmcnt(3)
	v_fmac_f64_e32 v[44:45], v[28:29], v[70:71]
	v_mul_f64 v[28:29], v[8:9], v[12:13]
	v_mul_f64 v[28:29], v[110:111], v[28:29]
	;; [unrolled: 1-line block ×4, first 2 shown]
	s_waitcnt lgkmcnt(2)
	v_fmac_f64_e32 v[44:45], v[52:53], v[74:75]
	v_mul_f64 v[52:53], v[36:37], v[28:29]
	v_mul_f64 v[52:53], v[112:113], v[52:53]
	ds_read_b64 v[56:57], v127 offset:64
	s_waitcnt lgkmcnt(2)
	v_fmac_f64_e32 v[44:45], v[52:53], v[78:79]
	v_mul_f64 v[52:53], v[32:33], v[28:29]
	v_mul_f64 v[52:53], v[106:107], v[52:53]
	s_waitcnt lgkmcnt(1)
	v_fmac_f64_e32 v[44:45], v[52:53], v[84:85]
	v_mul_f64 v[52:53], v[26:27], v[28:29]
	v_mul_f64 v[52:53], v[102:103], v[52:53]
	s_waitcnt lgkmcnt(0)
	v_fmac_f64_e32 v[44:45], v[52:53], v[56:57]
	ds_read_b64 v[52:53], v127 offset:72
	ds_read_b64 v[56:57], v127 offset:80
	v_mul_f64 v[28:29], v[22:23], v[28:29]
	v_mul_f64 v[28:29], v[94:95], v[28:29]
	s_waitcnt lgkmcnt(1)
	v_fmac_f64_e32 v[44:45], v[28:29], v[52:53]
	v_mul_f64 v[28:29], v[6:7], v[12:13]
	v_mul_f64 v[28:29], v[104:105], v[28:29]
	;; [unrolled: 1-line block ×4, first 2 shown]
	s_waitcnt lgkmcnt(0)
	v_fmac_f64_e32 v[44:45], v[52:53], v[56:57]
	ds_read_b64 v[56:57], v127 offset:88
	v_mul_f64 v[52:53], v[36:37], v[28:29]
	v_mul_f64 v[52:53], v[112:113], v[52:53]
	s_waitcnt lgkmcnt(0)
	v_fmac_f64_e32 v[44:45], v[52:53], v[56:57]
	ds_read_b64 v[56:57], v127 offset:96
	v_mul_f64 v[52:53], v[32:33], v[28:29]
	v_mul_f64 v[52:53], v[106:107], v[52:53]
	;; [unrolled: 5-line block ×3, first 2 shown]
	v_mul_f64 v[28:29], v[22:23], v[28:29]
	v_mul_f64 v[28:29], v[94:95], v[28:29]
	s_waitcnt lgkmcnt(0)
	v_fmac_f64_e32 v[44:45], v[52:53], v[56:57]
	ds_read_b64 v[52:53], v127 offset:112
	ds_read_b64 v[56:57], v127 offset:120
	s_waitcnt lgkmcnt(1)
	v_fmac_f64_e32 v[44:45], v[28:29], v[52:53]
	v_mul_f64 v[28:29], v[4:5], v[12:13]
	v_mul_f64 v[28:29], v[100:101], v[28:29]
	v_mul_f64 v[52:53], v[40:41], v[28:29]
	v_mul_f64 v[52:53], v[116:117], v[52:53]
	s_waitcnt lgkmcnt(0)
	v_fmac_f64_e32 v[44:45], v[52:53], v[56:57]
	ds_read_b64 v[56:57], v127 offset:128
	v_mul_f64 v[52:53], v[36:37], v[28:29]
	v_mul_f64 v[52:53], v[112:113], v[52:53]
	;; [unrolled: 1-line block ×4, first 2 shown]
	s_waitcnt lgkmcnt(0)
	v_fmac_f64_e32 v[44:45], v[52:53], v[56:57]
	ds_read_b64 v[56:57], v127 offset:136
	v_mul_f64 v[52:53], v[32:33], v[28:29]
	v_mul_f64 v[52:53], v[106:107], v[52:53]
	s_waitcnt lgkmcnt(0)
	v_fmac_f64_e32 v[44:45], v[52:53], v[56:57]
	ds_read_b64 v[56:57], v127 offset:144
	v_mul_f64 v[52:53], v[26:27], v[28:29]
	v_mul_f64 v[52:53], v[102:103], v[52:53]
	;; [unrolled: 1-line block ×4, first 2 shown]
	s_waitcnt lgkmcnt(0)
	v_fmac_f64_e32 v[44:45], v[52:53], v[56:57]
	ds_read_b64 v[52:53], v127 offset:152
	s_waitcnt lgkmcnt(0)
	v_fmac_f64_e32 v[44:45], v[28:29], v[52:53]
	ds_read_b64 v[52:53], v127 offset:160
	v_mul_f64 v[28:29], v[40:41], v[12:13]
	v_mul_f64 v[28:29], v[116:117], v[28:29]
	s_waitcnt lgkmcnt(0)
	v_fmac_f64_e32 v[44:45], v[28:29], v[52:53]
	ds_read_b64 v[52:53], v127 offset:168
	v_mul_f64 v[28:29], v[36:37], v[12:13]
	v_mul_f64 v[28:29], v[112:113], v[28:29]
	s_waitcnt lgkmcnt(0)
	v_fmac_f64_e32 v[44:45], v[28:29], v[52:53]
	ds_read_b64 v[52:53], v127 offset:176
	v_mul_f64 v[28:29], v[32:33], v[12:13]
	v_mul_f64 v[28:29], v[106:107], v[28:29]
	s_waitcnt lgkmcnt(0)
	v_fmac_f64_e32 v[44:45], v[28:29], v[52:53]
	ds_read_b64 v[52:53], v127 offset:184
	v_mul_f64 v[28:29], v[26:27], v[12:13]
	v_mul_f64 v[28:29], v[102:103], v[28:29]
	v_mul_f64 v[12:13], v[22:23], v[12:13]
	v_mul_f64 v[12:13], v[94:95], v[12:13]
	s_waitcnt lgkmcnt(0)
	v_fmac_f64_e32 v[44:45], v[28:29], v[52:53]
	ds_read_b64 v[28:29], v127 offset:192
	s_waitcnt lgkmcnt(0)
	v_fmac_f64_e32 v[44:45], v[12:13], v[28:29]
	v_mul_f64 v[12:13], v[14:15], v[30:31]
	ds_read_b64 v[30:31], v127 offset:200
	v_mul_f64 v[14:15], v[10:11], v[12:13]
	v_mul_f64 v[14:15], v[114:115], v[14:15]
	v_mul_f64 v[28:29], v[40:41], v[14:15]
	v_mul_f64 v[28:29], v[116:117], v[28:29]
	s_waitcnt lgkmcnt(0)
	v_fmac_f64_e32 v[44:45], v[30:31], v[28:29]
	ds_read_b64 v[30:31], v127 offset:208
	v_mul_f64 v[28:29], v[36:37], v[14:15]
	v_mul_f64 v[28:29], v[112:113], v[28:29]
	s_waitcnt lgkmcnt(0)
	v_fmac_f64_e32 v[44:45], v[30:31], v[28:29]
	ds_read_b64 v[30:31], v127 offset:216
	v_mul_f64 v[28:29], v[32:33], v[14:15]
	v_mul_f64 v[28:29], v[106:107], v[28:29]
	s_waitcnt lgkmcnt(0)
	v_fmac_f64_e32 v[44:45], v[30:31], v[28:29]
	ds_read_b64 v[30:31], v127 offset:224
	v_mul_f64 v[28:29], v[26:27], v[14:15]
	v_mul_f64 v[28:29], v[102:103], v[28:29]
	v_mul_f64 v[14:15], v[22:23], v[14:15]
	v_mul_f64 v[14:15], v[94:95], v[14:15]
	s_waitcnt lgkmcnt(0)
	v_fmac_f64_e32 v[44:45], v[30:31], v[28:29]
	ds_read_b64 v[28:29], v127 offset:232
	ds_read_b64 v[30:31], v127 offset:240
	s_waitcnt lgkmcnt(1)
	v_fmac_f64_e32 v[44:45], v[14:15], v[28:29]
	v_mul_f64 v[14:15], v[8:9], v[12:13]
	v_mul_f64 v[14:15], v[110:111], v[14:15]
	v_mul_f64 v[28:29], v[40:41], v[14:15]
	v_mul_f64 v[28:29], v[116:117], v[28:29]
	s_waitcnt lgkmcnt(0)
	v_fmac_f64_e32 v[44:45], v[28:29], v[30:31]
	ds_read_b64 v[30:31], v127 offset:248
	v_mul_f64 v[28:29], v[36:37], v[14:15]
	v_mul_f64 v[28:29], v[112:113], v[28:29]
	s_waitcnt lgkmcnt(0)
	v_fmac_f64_e32 v[44:45], v[28:29], v[30:31]
	ds_read_b64 v[30:31], v127 offset:256
	v_mul_f64 v[28:29], v[32:33], v[14:15]
	v_mul_f64 v[28:29], v[106:107], v[28:29]
	s_waitcnt lgkmcnt(0)
	v_fmac_f64_e32 v[44:45], v[28:29], v[30:31]
	ds_read_b64 v[30:31], v127 offset:264
	v_mul_f64 v[28:29], v[26:27], v[14:15]
	v_mul_f64 v[28:29], v[102:103], v[28:29]
	v_mul_f64 v[14:15], v[22:23], v[14:15]
	v_mul_f64 v[14:15], v[94:95], v[14:15]
	s_waitcnt lgkmcnt(0)
	v_fmac_f64_e32 v[44:45], v[28:29], v[30:31]
	ds_read_b64 v[28:29], v127 offset:272
	ds_read_b64 v[30:31], v127 offset:280
	s_waitcnt lgkmcnt(1)
	v_fmac_f64_e32 v[44:45], v[14:15], v[28:29]
	;; [unrolled: 27-line block ×3, first 2 shown]
	v_mul_f64 v[14:15], v[4:5], v[12:13]
	v_mul_f64 v[14:15], v[100:101], v[14:15]
	;; [unrolled: 1-line block ×4, first 2 shown]
	s_waitcnt lgkmcnt(0)
	v_fmac_f64_e32 v[44:45], v[28:29], v[30:31]
	ds_read_b64 v[30:31], v127 offset:328
	v_mul_f64 v[28:29], v[36:37], v[14:15]
	v_mul_f64 v[28:29], v[112:113], v[28:29]
	;; [unrolled: 1-line block ×4, first 2 shown]
	s_waitcnt lgkmcnt(0)
	v_fmac_f64_e32 v[44:45], v[28:29], v[30:31]
	ds_read_b64 v[30:31], v127 offset:336
	v_mul_f64 v[28:29], v[32:33], v[14:15]
	v_mul_f64 v[28:29], v[106:107], v[28:29]
	s_waitcnt lgkmcnt(0)
	v_fmac_f64_e32 v[44:45], v[28:29], v[30:31]
	ds_read_b64 v[30:31], v127 offset:344
	v_mul_f64 v[28:29], v[26:27], v[14:15]
	v_mul_f64 v[28:29], v[102:103], v[28:29]
	;; [unrolled: 1-line block ×4, first 2 shown]
	s_waitcnt lgkmcnt(0)
	v_fmac_f64_e32 v[44:45], v[28:29], v[30:31]
	ds_read_b64 v[28:29], v127 offset:352
	s_waitcnt lgkmcnt(0)
	v_fmac_f64_e32 v[44:45], v[14:15], v[28:29]
	ds_read_b64 v[28:29], v127 offset:360
	v_mul_f64 v[14:15], v[40:41], v[12:13]
	v_mul_f64 v[14:15], v[116:117], v[14:15]
	s_waitcnt lgkmcnt(0)
	v_fmac_f64_e32 v[44:45], v[14:15], v[28:29]
	ds_read_b64 v[28:29], v127 offset:368
	v_mul_f64 v[14:15], v[36:37], v[12:13]
	v_mul_f64 v[14:15], v[112:113], v[14:15]
	;; [unrolled: 5-line block ×4, first 2 shown]
	v_mul_f64 v[12:13], v[22:23], v[12:13]
	v_mul_f64 v[12:13], v[94:95], v[12:13]
	s_waitcnt lgkmcnt(0)
	v_fmac_f64_e32 v[44:45], v[14:15], v[28:29]
	ds_read_b64 v[14:15], v127 offset:392
	s_waitcnt lgkmcnt(0)
	v_fmac_f64_e32 v[44:45], v[12:13], v[14:15]
	ds_read_b64 v[12:13], v126 offset:64
	ds_read_b64 v[14:15], v252 offset:64
	;; [unrolled: 1-line block ×3, first 2 shown]
	s_waitcnt lgkmcnt(1)
	v_mul_f64 v[12:13], v[12:13], v[14:15]
	v_mul_f64 v[14:15], v[10:11], v[12:13]
	v_mul_f64 v[14:15], v[114:115], v[14:15]
	v_mul_f64 v[28:29], v[40:41], v[14:15]
	v_mul_f64 v[28:29], v[116:117], v[28:29]
	s_waitcnt lgkmcnt(0)
	v_fmac_f64_e32 v[44:45], v[30:31], v[28:29]
	ds_read_b64 v[30:31], v127 offset:408
	v_mul_f64 v[28:29], v[36:37], v[14:15]
	v_mul_f64 v[28:29], v[112:113], v[28:29]
	s_waitcnt lgkmcnt(0)
	v_fmac_f64_e32 v[44:45], v[30:31], v[28:29]
	ds_read_b64 v[30:31], v127 offset:416
	v_mul_f64 v[28:29], v[32:33], v[14:15]
	v_mul_f64 v[28:29], v[106:107], v[28:29]
	s_waitcnt lgkmcnt(0)
	v_fmac_f64_e32 v[44:45], v[30:31], v[28:29]
	ds_read_b64 v[30:31], v127 offset:424
	v_mul_f64 v[28:29], v[26:27], v[14:15]
	v_mul_f64 v[28:29], v[102:103], v[28:29]
	v_mul_f64 v[14:15], v[22:23], v[14:15]
	v_mul_f64 v[14:15], v[94:95], v[14:15]
	s_waitcnt lgkmcnt(0)
	v_fmac_f64_e32 v[44:45], v[30:31], v[28:29]
	ds_read_b64 v[28:29], v127 offset:432
	ds_read_b64 v[30:31], v127 offset:440
	s_waitcnt lgkmcnt(1)
	v_fmac_f64_e32 v[44:45], v[14:15], v[28:29]
	v_mul_f64 v[14:15], v[8:9], v[12:13]
	v_mul_f64 v[14:15], v[110:111], v[14:15]
	v_mul_f64 v[28:29], v[40:41], v[14:15]
	v_mul_f64 v[28:29], v[116:117], v[28:29]
	s_waitcnt lgkmcnt(0)
	v_fmac_f64_e32 v[44:45], v[28:29], v[30:31]
	ds_read_b64 v[30:31], v127 offset:448
	v_mul_f64 v[28:29], v[36:37], v[14:15]
	v_mul_f64 v[28:29], v[112:113], v[28:29]
	s_waitcnt lgkmcnt(0)
	v_fmac_f64_e32 v[44:45], v[28:29], v[30:31]
	ds_read_b64 v[30:31], v127 offset:456
	v_mul_f64 v[28:29], v[32:33], v[14:15]
	v_mul_f64 v[28:29], v[106:107], v[28:29]
	s_waitcnt lgkmcnt(0)
	v_fmac_f64_e32 v[44:45], v[28:29], v[30:31]
	ds_read_b64 v[30:31], v127 offset:464
	v_mul_f64 v[28:29], v[26:27], v[14:15]
	v_mul_f64 v[28:29], v[102:103], v[28:29]
	v_mul_f64 v[14:15], v[22:23], v[14:15]
	v_mul_f64 v[14:15], v[94:95], v[14:15]
	s_waitcnt lgkmcnt(0)
	v_fmac_f64_e32 v[44:45], v[28:29], v[30:31]
	ds_read_b64 v[28:29], v127 offset:472
	ds_read_b64 v[30:31], v127 offset:480
	s_waitcnt lgkmcnt(1)
	v_fmac_f64_e32 v[44:45], v[14:15], v[28:29]
	v_mul_f64 v[14:15], v[6:7], v[12:13]
	v_mul_f64 v[14:15], v[104:105], v[14:15]
	v_mul_f64 v[28:29], v[40:41], v[14:15]
	v_mul_f64 v[28:29], v[116:117], v[28:29]
	;; [unrolled: 27-line block ×3, first 2 shown]
	s_waitcnt lgkmcnt(0)
	v_fmac_f64_e32 v[44:45], v[28:29], v[30:31]
	ds_read_b64 v[30:31], v127 offset:528
	v_mul_f64 v[28:29], v[36:37], v[14:15]
	v_mul_f64 v[28:29], v[112:113], v[28:29]
	;; [unrolled: 1-line block ×4, first 2 shown]
	s_waitcnt lgkmcnt(0)
	v_fmac_f64_e32 v[44:45], v[28:29], v[30:31]
	ds_read_b64 v[30:31], v127 offset:536
	v_mul_f64 v[28:29], v[32:33], v[14:15]
	v_mul_f64 v[28:29], v[106:107], v[28:29]
	s_waitcnt lgkmcnt(0)
	v_fmac_f64_e32 v[44:45], v[28:29], v[30:31]
	ds_read_b64 v[30:31], v127 offset:544
	v_mul_f64 v[28:29], v[26:27], v[14:15]
	v_mul_f64 v[28:29], v[102:103], v[28:29]
	;; [unrolled: 1-line block ×4, first 2 shown]
	s_waitcnt lgkmcnt(0)
	v_fmac_f64_e32 v[44:45], v[28:29], v[30:31]
	ds_read_b64 v[28:29], v127 offset:552
	s_waitcnt lgkmcnt(0)
	v_fmac_f64_e32 v[44:45], v[14:15], v[28:29]
	ds_read_b64 v[28:29], v127 offset:560
	v_mul_f64 v[14:15], v[40:41], v[12:13]
	v_mul_f64 v[14:15], v[116:117], v[14:15]
	s_waitcnt lgkmcnt(0)
	v_fmac_f64_e32 v[44:45], v[14:15], v[28:29]
	ds_read_b64 v[28:29], v127 offset:568
	v_mul_f64 v[14:15], v[36:37], v[12:13]
	v_mul_f64 v[14:15], v[112:113], v[14:15]
	;; [unrolled: 5-line block ×4, first 2 shown]
	v_mul_f64 v[12:13], v[22:23], v[12:13]
	v_mul_f64 v[12:13], v[94:95], v[12:13]
	s_waitcnt lgkmcnt(0)
	v_fmac_f64_e32 v[44:45], v[14:15], v[28:29]
	ds_read_b64 v[14:15], v127 offset:592
	s_waitcnt lgkmcnt(0)
	v_fmac_f64_e32 v[44:45], v[12:13], v[14:15]
	ds_read_b64 v[12:13], v126 offset:96
	ds_read_b64 v[14:15], v252 offset:96
	;; [unrolled: 1-line block ×3, first 2 shown]
	s_waitcnt lgkmcnt(1)
	v_mul_f64 v[12:13], v[12:13], v[14:15]
	v_mul_f64 v[14:15], v[10:11], v[12:13]
	;; [unrolled: 1-line block ×5, first 2 shown]
	s_waitcnt lgkmcnt(0)
	v_fmac_f64_e32 v[44:45], v[30:31], v[28:29]
	ds_read_b64 v[30:31], v127 offset:608
	v_mul_f64 v[28:29], v[36:37], v[14:15]
	v_mul_f64 v[28:29], v[112:113], v[28:29]
	s_waitcnt lgkmcnt(0)
	v_fmac_f64_e32 v[44:45], v[30:31], v[28:29]
	ds_read_b64 v[30:31], v127 offset:616
	v_mul_f64 v[28:29], v[32:33], v[14:15]
	v_mul_f64 v[28:29], v[106:107], v[28:29]
	s_waitcnt lgkmcnt(0)
	v_fmac_f64_e32 v[44:45], v[30:31], v[28:29]
	ds_read_b64 v[30:31], v127 offset:624
	v_mul_f64 v[28:29], v[26:27], v[14:15]
	v_mul_f64 v[28:29], v[102:103], v[28:29]
	v_mul_f64 v[14:15], v[22:23], v[14:15]
	v_mul_f64 v[14:15], v[94:95], v[14:15]
	s_waitcnt lgkmcnt(0)
	v_fmac_f64_e32 v[44:45], v[30:31], v[28:29]
	ds_read_b64 v[28:29], v127 offset:632
	ds_read_b64 v[30:31], v127 offset:640
	s_waitcnt lgkmcnt(1)
	v_fmac_f64_e32 v[44:45], v[14:15], v[28:29]
	v_mul_f64 v[14:15], v[8:9], v[12:13]
	v_mul_f64 v[14:15], v[110:111], v[14:15]
	v_mul_f64 v[28:29], v[40:41], v[14:15]
	v_mul_f64 v[28:29], v[116:117], v[28:29]
	s_waitcnt lgkmcnt(0)
	v_fmac_f64_e32 v[44:45], v[28:29], v[30:31]
	ds_read_b64 v[30:31], v127 offset:648
	v_mul_f64 v[28:29], v[36:37], v[14:15]
	v_mul_f64 v[28:29], v[112:113], v[28:29]
	s_waitcnt lgkmcnt(0)
	v_fmac_f64_e32 v[44:45], v[28:29], v[30:31]
	ds_read_b64 v[30:31], v127 offset:656
	v_mul_f64 v[28:29], v[32:33], v[14:15]
	v_mul_f64 v[28:29], v[106:107], v[28:29]
	s_waitcnt lgkmcnt(0)
	v_fmac_f64_e32 v[44:45], v[28:29], v[30:31]
	ds_read_b64 v[30:31], v127 offset:664
	v_mul_f64 v[28:29], v[26:27], v[14:15]
	v_mul_f64 v[28:29], v[102:103], v[28:29]
	v_mul_f64 v[14:15], v[22:23], v[14:15]
	v_mul_f64 v[14:15], v[94:95], v[14:15]
	s_waitcnt lgkmcnt(0)
	v_fmac_f64_e32 v[44:45], v[28:29], v[30:31]
	ds_read_b64 v[28:29], v127 offset:672
	ds_read_b64 v[30:31], v127 offset:680
	s_waitcnt lgkmcnt(1)
	v_fmac_f64_e32 v[44:45], v[14:15], v[28:29]
	v_mul_f64 v[14:15], v[6:7], v[12:13]
	v_mul_f64 v[14:15], v[104:105], v[14:15]
	v_mul_f64 v[28:29], v[40:41], v[14:15]
	v_mul_f64 v[28:29], v[116:117], v[28:29]
	s_waitcnt lgkmcnt(0)
	v_fmac_f64_e32 v[44:45], v[28:29], v[30:31]
	ds_read_b64 v[30:31], v127 offset:688
	v_mul_f64 v[28:29], v[36:37], v[14:15]
	v_mul_f64 v[28:29], v[112:113], v[28:29]
	s_waitcnt lgkmcnt(0)
	v_fmac_f64_e32 v[44:45], v[28:29], v[30:31]
	ds_read_b64 v[30:31], v127 offset:696
	v_mul_f64 v[28:29], v[32:33], v[14:15]
	v_mul_f64 v[28:29], v[106:107], v[28:29]
	s_waitcnt lgkmcnt(0)
	v_fmac_f64_e32 v[44:45], v[28:29], v[30:31]
	ds_read_b64 v[30:31], v127 offset:704
	v_mul_f64 v[28:29], v[26:27], v[14:15]
	v_mul_f64 v[28:29], v[102:103], v[28:29]
	v_mul_f64 v[14:15], v[22:23], v[14:15]
	v_mul_f64 v[14:15], v[94:95], v[14:15]
	s_waitcnt lgkmcnt(0)
	v_fmac_f64_e32 v[44:45], v[28:29], v[30:31]
	ds_read_b64 v[28:29], v127 offset:712
	ds_read_b64 v[30:31], v127 offset:720
	s_waitcnt lgkmcnt(1)
	v_fmac_f64_e32 v[44:45], v[14:15], v[28:29]
	v_mul_f64 v[14:15], v[4:5], v[12:13]
	v_mul_f64 v[14:15], v[100:101], v[14:15]
	v_mul_f64 v[28:29], v[40:41], v[14:15]
	v_mul_f64 v[28:29], v[116:117], v[28:29]
	s_waitcnt lgkmcnt(0)
	v_fmac_f64_e32 v[44:45], v[28:29], v[30:31]
	ds_read_b64 v[30:31], v127 offset:728
	v_mul_f64 v[28:29], v[36:37], v[14:15]
	v_mul_f64 v[28:29], v[112:113], v[28:29]
	;; [unrolled: 1-line block ×4, first 2 shown]
	s_waitcnt lgkmcnt(0)
	v_fmac_f64_e32 v[44:45], v[28:29], v[30:31]
	ds_read_b64 v[30:31], v127 offset:736
	v_mul_f64 v[28:29], v[32:33], v[14:15]
	v_mul_f64 v[28:29], v[106:107], v[28:29]
	s_waitcnt lgkmcnt(0)
	v_fmac_f64_e32 v[44:45], v[28:29], v[30:31]
	ds_read_b64 v[30:31], v127 offset:744
	v_mul_f64 v[28:29], v[26:27], v[14:15]
	v_mul_f64 v[28:29], v[102:103], v[28:29]
	;; [unrolled: 1-line block ×4, first 2 shown]
	s_waitcnt lgkmcnt(0)
	v_fmac_f64_e32 v[44:45], v[28:29], v[30:31]
	ds_read_b64 v[28:29], v127 offset:752
	s_waitcnt lgkmcnt(0)
	v_fmac_f64_e32 v[44:45], v[14:15], v[28:29]
	ds_read_b64 v[28:29], v127 offset:760
	v_mul_f64 v[14:15], v[40:41], v[12:13]
	v_mul_f64 v[14:15], v[116:117], v[14:15]
	s_waitcnt lgkmcnt(0)
	v_fmac_f64_e32 v[44:45], v[14:15], v[28:29]
	ds_read_b64 v[28:29], v127 offset:768
	v_mul_f64 v[14:15], v[36:37], v[12:13]
	v_mul_f64 v[14:15], v[112:113], v[14:15]
	;; [unrolled: 5-line block ×4, first 2 shown]
	v_mul_f64 v[12:13], v[22:23], v[12:13]
	v_mul_f64 v[12:13], v[94:95], v[12:13]
	s_waitcnt lgkmcnt(0)
	v_fmac_f64_e32 v[44:45], v[14:15], v[28:29]
	ds_read_b64 v[14:15], v127 offset:792
	s_waitcnt lgkmcnt(0)
	v_fmac_f64_e32 v[44:45], v[12:13], v[14:15]
	ds_read_b64 v[12:13], v126 offset:128
	ds_read_b64 v[14:15], v252 offset:128
	;; [unrolled: 1-line block ×3, first 2 shown]
	s_waitcnt lgkmcnt(1)
	v_mul_f64 v[12:13], v[12:13], v[14:15]
	v_mul_f64 v[10:11], v[10:11], v[12:13]
	;; [unrolled: 1-line block ×5, first 2 shown]
	s_waitcnt lgkmcnt(0)
	v_fmac_f64_e32 v[44:45], v[28:29], v[14:15]
	ds_read_b64 v[28:29], v127 offset:808
	v_mul_f64 v[14:15], v[36:37], v[10:11]
	v_mul_f64 v[14:15], v[112:113], v[14:15]
	v_mul_f64 v[8:9], v[8:9], v[12:13]
	v_mul_f64 v[8:9], v[110:111], v[8:9]
	s_waitcnt lgkmcnt(0)
	v_fmac_f64_e32 v[44:45], v[28:29], v[14:15]
	ds_read_b64 v[28:29], v127 offset:816
	v_mul_f64 v[14:15], v[32:33], v[10:11]
	v_mul_f64 v[14:15], v[106:107], v[14:15]
	v_mul_f64 v[6:7], v[6:7], v[12:13]
	v_mul_f64 v[6:7], v[104:105], v[6:7]
	;; [unrolled: 7-line block ×3, first 2 shown]
	s_waitcnt lgkmcnt(0)
	v_fmac_f64_e32 v[44:45], v[28:29], v[14:15]
	ds_read_b64 v[14:15], v127 offset:832
	v_mul_f64 v[4:5], v[4:5], v[12:13]
	v_mul_f64 v[4:5], v[100:101], v[4:5]
	s_waitcnt lgkmcnt(0)
	v_fmac_f64_e32 v[44:45], v[10:11], v[14:15]
	ds_read_b64 v[14:15], v127 offset:840
	v_mul_f64 v[10:11], v[40:41], v[8:9]
	v_mul_f64 v[10:11], v[116:117], v[10:11]
	s_waitcnt lgkmcnt(0)
	v_fmac_f64_e32 v[44:45], v[10:11], v[14:15]
	ds_read_b64 v[14:15], v127 offset:848
	v_mul_f64 v[10:11], v[36:37], v[8:9]
	v_mul_f64 v[10:11], v[112:113], v[10:11]
	s_waitcnt lgkmcnt(0)
	v_fmac_f64_e32 v[44:45], v[10:11], v[14:15]
	ds_read_b64 v[14:15], v127 offset:856
	v_mul_f64 v[10:11], v[32:33], v[8:9]
	v_mul_f64 v[10:11], v[106:107], v[10:11]
	s_waitcnt lgkmcnt(0)
	v_fmac_f64_e32 v[44:45], v[10:11], v[14:15]
	ds_read_b64 v[14:15], v127 offset:864
	v_mul_f64 v[10:11], v[26:27], v[8:9]
	v_mul_f64 v[10:11], v[102:103], v[10:11]
	v_mul_f64 v[8:9], v[22:23], v[8:9]
	v_mul_f64 v[8:9], v[94:95], v[8:9]
	s_waitcnt lgkmcnt(0)
	v_fmac_f64_e32 v[44:45], v[10:11], v[14:15]
	ds_read_b64 v[10:11], v127 offset:872
	s_waitcnt lgkmcnt(0)
	v_fmac_f64_e32 v[44:45], v[8:9], v[10:11]
	ds_read_b64 v[10:11], v127 offset:880
	v_mul_f64 v[8:9], v[40:41], v[6:7]
	v_mul_f64 v[8:9], v[116:117], v[8:9]
	s_waitcnt lgkmcnt(0)
	v_fmac_f64_e32 v[44:45], v[8:9], v[10:11]
	ds_read_b64 v[10:11], v127 offset:888
	v_mul_f64 v[8:9], v[36:37], v[6:7]
	v_mul_f64 v[8:9], v[112:113], v[8:9]
	s_waitcnt lgkmcnt(0)
	v_fmac_f64_e32 v[44:45], v[8:9], v[10:11]
	ds_read_b64 v[10:11], v127 offset:896
	v_mul_f64 v[8:9], v[32:33], v[6:7]
	v_mul_f64 v[8:9], v[106:107], v[8:9]
	s_waitcnt lgkmcnt(0)
	v_fmac_f64_e32 v[44:45], v[8:9], v[10:11]
	ds_read_b64 v[10:11], v127 offset:904
	v_mul_f64 v[8:9], v[26:27], v[6:7]
	v_mul_f64 v[8:9], v[102:103], v[8:9]
	v_mul_f64 v[6:7], v[22:23], v[6:7]
	v_mul_f64 v[6:7], v[94:95], v[6:7]
	s_waitcnt lgkmcnt(0)
	v_fmac_f64_e32 v[44:45], v[8:9], v[10:11]
	ds_read_b64 v[8:9], v127 offset:912
	s_waitcnt lgkmcnt(0)
	v_fmac_f64_e32 v[44:45], v[6:7], v[8:9]
	ds_read_b64 v[8:9], v127 offset:920
	v_mul_f64 v[6:7], v[40:41], v[4:5]
	v_mul_f64 v[6:7], v[116:117], v[6:7]
	s_waitcnt lgkmcnt(0)
	v_fmac_f64_e32 v[44:45], v[6:7], v[8:9]
	ds_read_b64 v[8:9], v127 offset:928
	v_mul_f64 v[6:7], v[36:37], v[4:5]
	v_mul_f64 v[6:7], v[112:113], v[6:7]
	;; [unrolled: 5-line block ×4, first 2 shown]
	v_mul_f64 v[4:5], v[22:23], v[4:5]
	v_mul_f64 v[4:5], v[94:95], v[4:5]
	s_waitcnt lgkmcnt(0)
	v_fmac_f64_e32 v[44:45], v[6:7], v[8:9]
	ds_read_b64 v[6:7], v127 offset:952
	ds_read_b64 v[8:9], v127 offset:960
	s_waitcnt lgkmcnt(1)
	v_fmac_f64_e32 v[44:45], v[4:5], v[6:7]
	v_mul_f64 v[4:5], v[48:49], v[12:13]
	v_mul_f64 v[4:5], v[92:93], v[4:5]
	;; [unrolled: 1-line block ×4, first 2 shown]
	s_waitcnt lgkmcnt(0)
	v_fmac_f64_e32 v[44:45], v[6:7], v[8:9]
	ds_read_b64 v[8:9], v127 offset:968
	v_mul_f64 v[6:7], v[36:37], v[4:5]
	v_mul_f64 v[6:7], v[112:113], v[6:7]
	s_waitcnt lgkmcnt(0)
	v_fmac_f64_e32 v[44:45], v[6:7], v[8:9]
	ds_read_b64 v[8:9], v127 offset:976
	v_mul_f64 v[6:7], v[32:33], v[4:5]
	v_mul_f64 v[6:7], v[106:107], v[6:7]
	;; [unrolled: 5-line block ×3, first 2 shown]
	v_mul_f64 v[4:5], v[22:23], v[4:5]
	v_mul_f64 v[4:5], v[94:95], v[4:5]
	s_waitcnt lgkmcnt(0)
	v_fmac_f64_e32 v[44:45], v[6:7], v[8:9]
	ds_read_b64 v[6:7], v127 offset:992
	s_waitcnt lgkmcnt(0)
	v_fmac_f64_e32 v[44:45], v[4:5], v[6:7]
	global_store_dwordx2 v[128:129], v[44:45], off
	ds_read_b64 v[40:41], v125
	ds_read_b64 v[36:37], v125 offset:32
	ds_read_b64 v[32:33], v125 offset:64
	;; [unrolled: 1-line block ×4, first 2 shown]
	ds_read_b64 v[28:29], v124
	ds_read_b64 v[30:31], v127 offset:1032
	ds_read_b64 v[12:13], v124 offset:32
	;; [unrolled: 1-line block ×9, first 2 shown]
	ds_read_b64 v[44:45], v126
	ds_read_b64 v[56:57], v126 offset:32
	ds_read_b64 v[62:63], v252
	ds_read_b64 v[66:67], v252 offset:32
	;; [unrolled: 2-line block ×3, first 2 shown]
	ds_read_b64 v[84:85], v127 offset:16
	ds_read_b64 v[88:89], v127 offset:24
	;; [unrolled: 1-line block ×6, first 2 shown]
	s_waitcnt lgkmcnt(9)
	v_mul_f64 v[62:63], v[44:45], v[62:63]
	v_mul_f64 v[44:45], v[28:29], v[62:63]
	;; [unrolled: 1-line block ×5, first 2 shown]
	s_waitcnt lgkmcnt(7)
	v_fma_f64 v[44:45], v[74:75], v[44:45], 0
	v_mul_f64 v[74:75], v[36:37], v[70:71]
	v_mul_f64 v[74:75], v[76:77], v[74:75]
	s_waitcnt lgkmcnt(6)
	v_fmac_f64_e32 v[44:45], v[78:79], v[74:75]
	v_mul_f64 v[74:75], v[32:33], v[70:71]
	v_mul_f64 v[74:75], v[72:73], v[74:75]
	s_waitcnt lgkmcnt(5)
	v_fmac_f64_e32 v[44:45], v[84:85], v[74:75]
	v_mul_f64 v[74:75], v[26:27], v[70:71]
	v_mul_f64 v[74:75], v[68:69], v[74:75]
	;; [unrolled: 1-line block ×3, first 2 shown]
	s_waitcnt lgkmcnt(4)
	v_fmac_f64_e32 v[44:45], v[88:89], v[74:75]
	v_mul_f64 v[70:71], v[64:65], v[70:71]
	s_waitcnt lgkmcnt(3)
	v_fmac_f64_e32 v[44:45], v[70:71], v[92:93]
	v_mul_f64 v[70:71], v[12:13], v[62:63]
	v_mul_f64 v[70:71], v[14:15], v[70:71]
	;; [unrolled: 1-line block ×4, first 2 shown]
	s_waitcnt lgkmcnt(2)
	v_fmac_f64_e32 v[44:45], v[74:75], v[94:95]
	v_mul_f64 v[74:75], v[36:37], v[70:71]
	v_mul_f64 v[74:75], v[76:77], v[74:75]
	ds_read_b64 v[78:79], v127 offset:64
	s_waitcnt lgkmcnt(2)
	v_fmac_f64_e32 v[44:45], v[74:75], v[96:97]
	v_mul_f64 v[74:75], v[32:33], v[70:71]
	v_mul_f64 v[74:75], v[72:73], v[74:75]
	s_waitcnt lgkmcnt(1)
	v_fmac_f64_e32 v[44:45], v[74:75], v[98:99]
	v_mul_f64 v[74:75], v[26:27], v[70:71]
	v_mul_f64 v[74:75], v[68:69], v[74:75]
	s_waitcnt lgkmcnt(0)
	v_fmac_f64_e32 v[44:45], v[74:75], v[78:79]
	ds_read_b64 v[74:75], v127 offset:72
	ds_read_b64 v[78:79], v127 offset:80
	v_mul_f64 v[70:71], v[22:23], v[70:71]
	v_mul_f64 v[70:71], v[64:65], v[70:71]
	;; [unrolled: 1-line block ×3, first 2 shown]
	s_waitcnt lgkmcnt(1)
	v_fmac_f64_e32 v[44:45], v[70:71], v[74:75]
	v_mul_f64 v[70:71], v[8:9], v[62:63]
	v_mul_f64 v[70:71], v[10:11], v[70:71]
	;; [unrolled: 1-line block ×4, first 2 shown]
	s_waitcnt lgkmcnt(0)
	v_fmac_f64_e32 v[44:45], v[74:75], v[78:79]
	ds_read_b64 v[78:79], v127 offset:88
	v_mul_f64 v[74:75], v[36:37], v[70:71]
	v_mul_f64 v[74:75], v[76:77], v[74:75]
	s_waitcnt lgkmcnt(0)
	v_fmac_f64_e32 v[44:45], v[74:75], v[78:79]
	ds_read_b64 v[78:79], v127 offset:96
	v_mul_f64 v[74:75], v[32:33], v[70:71]
	v_mul_f64 v[74:75], v[72:73], v[74:75]
	;; [unrolled: 5-line block ×3, first 2 shown]
	v_mul_f64 v[70:71], v[22:23], v[70:71]
	v_mul_f64 v[70:71], v[64:65], v[70:71]
	s_waitcnt lgkmcnt(0)
	v_fmac_f64_e32 v[44:45], v[74:75], v[78:79]
	ds_read_b64 v[74:75], v127 offset:112
	ds_read_b64 v[78:79], v127 offset:120
	s_waitcnt lgkmcnt(1)
	v_fmac_f64_e32 v[44:45], v[70:71], v[74:75]
	v_mul_f64 v[70:71], v[4:5], v[62:63]
	v_mul_f64 v[70:71], v[6:7], v[70:71]
	;; [unrolled: 1-line block ×4, first 2 shown]
	s_waitcnt lgkmcnt(0)
	v_fmac_f64_e32 v[44:45], v[74:75], v[78:79]
	ds_read_b64 v[78:79], v127 offset:128
	v_mul_f64 v[74:75], v[36:37], v[70:71]
	v_mul_f64 v[74:75], v[76:77], v[74:75]
	;; [unrolled: 1-line block ×4, first 2 shown]
	s_waitcnt lgkmcnt(0)
	v_fmac_f64_e32 v[44:45], v[74:75], v[78:79]
	ds_read_b64 v[78:79], v127 offset:136
	v_mul_f64 v[74:75], v[32:33], v[70:71]
	v_mul_f64 v[74:75], v[72:73], v[74:75]
	s_waitcnt lgkmcnt(0)
	v_fmac_f64_e32 v[44:45], v[74:75], v[78:79]
	ds_read_b64 v[78:79], v127 offset:144
	v_mul_f64 v[74:75], v[26:27], v[70:71]
	v_mul_f64 v[74:75], v[68:69], v[74:75]
	;; [unrolled: 1-line block ×4, first 2 shown]
	s_waitcnt lgkmcnt(0)
	v_fmac_f64_e32 v[44:45], v[74:75], v[78:79]
	ds_read_b64 v[74:75], v127 offset:152
	s_waitcnt lgkmcnt(0)
	v_fmac_f64_e32 v[44:45], v[70:71], v[74:75]
	ds_read_b64 v[74:75], v127 offset:160
	v_mul_f64 v[70:71], v[40:41], v[62:63]
	v_mul_f64 v[70:71], v[80:81], v[70:71]
	s_waitcnt lgkmcnt(0)
	v_fmac_f64_e32 v[44:45], v[70:71], v[74:75]
	ds_read_b64 v[74:75], v127 offset:168
	v_mul_f64 v[70:71], v[36:37], v[62:63]
	v_mul_f64 v[70:71], v[76:77], v[70:71]
	;; [unrolled: 5-line block ×4, first 2 shown]
	v_mul_f64 v[62:63], v[22:23], v[62:63]
	v_mul_f64 v[62:63], v[64:65], v[62:63]
	s_waitcnt lgkmcnt(0)
	v_fmac_f64_e32 v[44:45], v[70:71], v[74:75]
	ds_read_b64 v[70:71], v127 offset:192
	s_waitcnt lgkmcnt(0)
	v_fmac_f64_e32 v[44:45], v[62:63], v[70:71]
	ds_read_b64 v[70:71], v127 offset:200
	v_mul_f64 v[62:63], v[28:29], v[56:57]
	v_mul_f64 v[62:63], v[30:31], v[62:63]
	v_mul_f64 v[66:67], v[40:41], v[62:63]
	v_mul_f64 v[66:67], v[80:81], v[66:67]
	s_waitcnt lgkmcnt(0)
	v_fmac_f64_e32 v[44:45], v[70:71], v[66:67]
	ds_read_b64 v[70:71], v127 offset:208
	v_mul_f64 v[66:67], v[36:37], v[62:63]
	v_mul_f64 v[66:67], v[76:77], v[66:67]
	s_waitcnt lgkmcnt(0)
	v_fmac_f64_e32 v[44:45], v[70:71], v[66:67]
	ds_read_b64 v[70:71], v127 offset:216
	v_mul_f64 v[66:67], v[32:33], v[62:63]
	v_mul_f64 v[66:67], v[72:73], v[66:67]
	s_waitcnt lgkmcnt(0)
	v_fmac_f64_e32 v[44:45], v[70:71], v[66:67]
	ds_read_b64 v[70:71], v127 offset:224
	v_mul_f64 v[66:67], v[26:27], v[62:63]
	v_mul_f64 v[66:67], v[68:69], v[66:67]
	v_mul_f64 v[62:63], v[22:23], v[62:63]
	v_mul_f64 v[62:63], v[64:65], v[62:63]
	s_waitcnt lgkmcnt(0)
	v_fmac_f64_e32 v[44:45], v[70:71], v[66:67]
	ds_read_b64 v[66:67], v127 offset:232
	ds_read_b64 v[70:71], v127 offset:240
	s_waitcnt lgkmcnt(1)
	v_fmac_f64_e32 v[44:45], v[62:63], v[66:67]
	v_mul_f64 v[62:63], v[12:13], v[56:57]
	v_mul_f64 v[62:63], v[14:15], v[62:63]
	v_mul_f64 v[66:67], v[40:41], v[62:63]
	v_mul_f64 v[66:67], v[80:81], v[66:67]
	s_waitcnt lgkmcnt(0)
	v_fmac_f64_e32 v[44:45], v[66:67], v[70:71]
	ds_read_b64 v[70:71], v127 offset:248
	v_mul_f64 v[66:67], v[36:37], v[62:63]
	v_mul_f64 v[66:67], v[76:77], v[66:67]
	s_waitcnt lgkmcnt(0)
	v_fmac_f64_e32 v[44:45], v[66:67], v[70:71]
	ds_read_b64 v[70:71], v127 offset:256
	v_mul_f64 v[66:67], v[32:33], v[62:63]
	v_mul_f64 v[66:67], v[72:73], v[66:67]
	s_waitcnt lgkmcnt(0)
	v_fmac_f64_e32 v[44:45], v[66:67], v[70:71]
	ds_read_b64 v[70:71], v127 offset:264
	v_mul_f64 v[66:67], v[26:27], v[62:63]
	v_mul_f64 v[66:67], v[68:69], v[66:67]
	v_mul_f64 v[62:63], v[22:23], v[62:63]
	v_mul_f64 v[62:63], v[64:65], v[62:63]
	s_waitcnt lgkmcnt(0)
	v_fmac_f64_e32 v[44:45], v[66:67], v[70:71]
	ds_read_b64 v[66:67], v127 offset:272
	ds_read_b64 v[70:71], v127 offset:280
	s_waitcnt lgkmcnt(1)
	v_fmac_f64_e32 v[44:45], v[62:63], v[66:67]
	;; [unrolled: 27-line block ×3, first 2 shown]
	v_mul_f64 v[62:63], v[4:5], v[56:57]
	v_mul_f64 v[62:63], v[6:7], v[62:63]
	;; [unrolled: 1-line block ×4, first 2 shown]
	s_waitcnt lgkmcnt(0)
	v_fmac_f64_e32 v[44:45], v[66:67], v[70:71]
	ds_read_b64 v[70:71], v127 offset:328
	v_mul_f64 v[66:67], v[36:37], v[62:63]
	v_mul_f64 v[66:67], v[76:77], v[66:67]
	;; [unrolled: 1-line block ×4, first 2 shown]
	s_waitcnt lgkmcnt(0)
	v_fmac_f64_e32 v[44:45], v[66:67], v[70:71]
	ds_read_b64 v[70:71], v127 offset:336
	v_mul_f64 v[66:67], v[32:33], v[62:63]
	v_mul_f64 v[66:67], v[72:73], v[66:67]
	s_waitcnt lgkmcnt(0)
	v_fmac_f64_e32 v[44:45], v[66:67], v[70:71]
	ds_read_b64 v[70:71], v127 offset:344
	v_mul_f64 v[66:67], v[26:27], v[62:63]
	v_mul_f64 v[66:67], v[68:69], v[66:67]
	;; [unrolled: 1-line block ×4, first 2 shown]
	s_waitcnt lgkmcnt(0)
	v_fmac_f64_e32 v[44:45], v[66:67], v[70:71]
	ds_read_b64 v[66:67], v127 offset:352
	s_waitcnt lgkmcnt(0)
	v_fmac_f64_e32 v[44:45], v[62:63], v[66:67]
	ds_read_b64 v[66:67], v127 offset:360
	v_mul_f64 v[62:63], v[40:41], v[56:57]
	v_mul_f64 v[62:63], v[80:81], v[62:63]
	s_waitcnt lgkmcnt(0)
	v_fmac_f64_e32 v[44:45], v[62:63], v[66:67]
	ds_read_b64 v[66:67], v127 offset:368
	v_mul_f64 v[62:63], v[36:37], v[56:57]
	v_mul_f64 v[62:63], v[76:77], v[62:63]
	;; [unrolled: 5-line block ×4, first 2 shown]
	v_mul_f64 v[56:57], v[22:23], v[56:57]
	v_mul_f64 v[56:57], v[64:65], v[56:57]
	s_waitcnt lgkmcnt(0)
	v_fmac_f64_e32 v[44:45], v[62:63], v[66:67]
	ds_read_b64 v[62:63], v127 offset:392
	s_waitcnt lgkmcnt(0)
	v_fmac_f64_e32 v[44:45], v[56:57], v[62:63]
	ds_read_b64 v[56:57], v126 offset:64
	ds_read_b64 v[62:63], v252 offset:64
	;; [unrolled: 1-line block ×3, first 2 shown]
	s_waitcnt lgkmcnt(1)
	v_mul_f64 v[56:57], v[56:57], v[62:63]
	v_mul_f64 v[62:63], v[28:29], v[56:57]
	;; [unrolled: 1-line block ×5, first 2 shown]
	s_waitcnt lgkmcnt(0)
	v_fmac_f64_e32 v[44:45], v[70:71], v[66:67]
	ds_read_b64 v[70:71], v127 offset:408
	v_mul_f64 v[66:67], v[36:37], v[62:63]
	v_mul_f64 v[66:67], v[76:77], v[66:67]
	s_waitcnt lgkmcnt(0)
	v_fmac_f64_e32 v[44:45], v[70:71], v[66:67]
	ds_read_b64 v[70:71], v127 offset:416
	v_mul_f64 v[66:67], v[32:33], v[62:63]
	v_mul_f64 v[66:67], v[72:73], v[66:67]
	s_waitcnt lgkmcnt(0)
	v_fmac_f64_e32 v[44:45], v[70:71], v[66:67]
	ds_read_b64 v[70:71], v127 offset:424
	v_mul_f64 v[66:67], v[26:27], v[62:63]
	v_mul_f64 v[66:67], v[68:69], v[66:67]
	v_mul_f64 v[62:63], v[22:23], v[62:63]
	v_mul_f64 v[62:63], v[64:65], v[62:63]
	s_waitcnt lgkmcnt(0)
	v_fmac_f64_e32 v[44:45], v[70:71], v[66:67]
	ds_read_b64 v[66:67], v127 offset:432
	ds_read_b64 v[70:71], v127 offset:440
	s_waitcnt lgkmcnt(1)
	v_fmac_f64_e32 v[44:45], v[62:63], v[66:67]
	v_mul_f64 v[62:63], v[12:13], v[56:57]
	v_mul_f64 v[62:63], v[14:15], v[62:63]
	v_mul_f64 v[66:67], v[40:41], v[62:63]
	v_mul_f64 v[66:67], v[80:81], v[66:67]
	s_waitcnt lgkmcnt(0)
	v_fmac_f64_e32 v[44:45], v[66:67], v[70:71]
	ds_read_b64 v[70:71], v127 offset:448
	v_mul_f64 v[66:67], v[36:37], v[62:63]
	v_mul_f64 v[66:67], v[76:77], v[66:67]
	s_waitcnt lgkmcnt(0)
	v_fmac_f64_e32 v[44:45], v[66:67], v[70:71]
	ds_read_b64 v[70:71], v127 offset:456
	v_mul_f64 v[66:67], v[32:33], v[62:63]
	v_mul_f64 v[66:67], v[72:73], v[66:67]
	s_waitcnt lgkmcnt(0)
	v_fmac_f64_e32 v[44:45], v[66:67], v[70:71]
	ds_read_b64 v[70:71], v127 offset:464
	v_mul_f64 v[66:67], v[26:27], v[62:63]
	v_mul_f64 v[66:67], v[68:69], v[66:67]
	v_mul_f64 v[62:63], v[22:23], v[62:63]
	v_mul_f64 v[62:63], v[64:65], v[62:63]
	s_waitcnt lgkmcnt(0)
	v_fmac_f64_e32 v[44:45], v[66:67], v[70:71]
	ds_read_b64 v[66:67], v127 offset:472
	ds_read_b64 v[70:71], v127 offset:480
	s_waitcnt lgkmcnt(1)
	v_fmac_f64_e32 v[44:45], v[62:63], v[66:67]
	v_mul_f64 v[62:63], v[8:9], v[56:57]
	v_mul_f64 v[62:63], v[10:11], v[62:63]
	v_mul_f64 v[66:67], v[40:41], v[62:63]
	v_mul_f64 v[66:67], v[80:81], v[66:67]
	;; [unrolled: 27-line block ×3, first 2 shown]
	s_waitcnt lgkmcnt(0)
	v_fmac_f64_e32 v[44:45], v[66:67], v[70:71]
	ds_read_b64 v[70:71], v127 offset:528
	v_mul_f64 v[66:67], v[36:37], v[62:63]
	v_mul_f64 v[66:67], v[76:77], v[66:67]
	;; [unrolled: 1-line block ×4, first 2 shown]
	s_waitcnt lgkmcnt(0)
	v_fmac_f64_e32 v[44:45], v[66:67], v[70:71]
	ds_read_b64 v[70:71], v127 offset:536
	v_mul_f64 v[66:67], v[32:33], v[62:63]
	v_mul_f64 v[66:67], v[72:73], v[66:67]
	s_waitcnt lgkmcnt(0)
	v_fmac_f64_e32 v[44:45], v[66:67], v[70:71]
	ds_read_b64 v[70:71], v127 offset:544
	v_mul_f64 v[66:67], v[26:27], v[62:63]
	v_mul_f64 v[66:67], v[68:69], v[66:67]
	;; [unrolled: 1-line block ×4, first 2 shown]
	s_waitcnt lgkmcnt(0)
	v_fmac_f64_e32 v[44:45], v[66:67], v[70:71]
	ds_read_b64 v[66:67], v127 offset:552
	s_waitcnt lgkmcnt(0)
	v_fmac_f64_e32 v[44:45], v[62:63], v[66:67]
	ds_read_b64 v[66:67], v127 offset:560
	v_mul_f64 v[62:63], v[40:41], v[56:57]
	v_mul_f64 v[62:63], v[80:81], v[62:63]
	s_waitcnt lgkmcnt(0)
	v_fmac_f64_e32 v[44:45], v[62:63], v[66:67]
	ds_read_b64 v[66:67], v127 offset:568
	v_mul_f64 v[62:63], v[36:37], v[56:57]
	v_mul_f64 v[62:63], v[76:77], v[62:63]
	;; [unrolled: 5-line block ×4, first 2 shown]
	v_mul_f64 v[56:57], v[22:23], v[56:57]
	v_mul_f64 v[56:57], v[64:65], v[56:57]
	s_waitcnt lgkmcnt(0)
	v_fmac_f64_e32 v[44:45], v[62:63], v[66:67]
	ds_read_b64 v[62:63], v127 offset:592
	s_waitcnt lgkmcnt(0)
	v_fmac_f64_e32 v[44:45], v[56:57], v[62:63]
	ds_read_b64 v[56:57], v126 offset:96
	ds_read_b64 v[62:63], v252 offset:96
	ds_read_b64 v[70:71], v127 offset:600
	s_waitcnt lgkmcnt(1)
	v_mul_f64 v[56:57], v[56:57], v[62:63]
	v_mul_f64 v[62:63], v[28:29], v[56:57]
	;; [unrolled: 1-line block ×5, first 2 shown]
	s_waitcnt lgkmcnt(0)
	v_fmac_f64_e32 v[44:45], v[70:71], v[66:67]
	ds_read_b64 v[70:71], v127 offset:608
	v_mul_f64 v[66:67], v[36:37], v[62:63]
	v_mul_f64 v[66:67], v[76:77], v[66:67]
	s_waitcnt lgkmcnt(0)
	v_fmac_f64_e32 v[44:45], v[70:71], v[66:67]
	ds_read_b64 v[70:71], v127 offset:616
	v_mul_f64 v[66:67], v[32:33], v[62:63]
	v_mul_f64 v[66:67], v[72:73], v[66:67]
	s_waitcnt lgkmcnt(0)
	v_fmac_f64_e32 v[44:45], v[70:71], v[66:67]
	ds_read_b64 v[70:71], v127 offset:624
	v_mul_f64 v[66:67], v[26:27], v[62:63]
	v_mul_f64 v[66:67], v[68:69], v[66:67]
	v_mul_f64 v[62:63], v[22:23], v[62:63]
	v_mul_f64 v[62:63], v[64:65], v[62:63]
	s_waitcnt lgkmcnt(0)
	v_fmac_f64_e32 v[44:45], v[70:71], v[66:67]
	ds_read_b64 v[66:67], v127 offset:632
	ds_read_b64 v[70:71], v127 offset:640
	s_waitcnt lgkmcnt(1)
	v_fmac_f64_e32 v[44:45], v[62:63], v[66:67]
	v_mul_f64 v[62:63], v[12:13], v[56:57]
	v_mul_f64 v[62:63], v[14:15], v[62:63]
	v_mul_f64 v[66:67], v[40:41], v[62:63]
	v_mul_f64 v[66:67], v[80:81], v[66:67]
	s_waitcnt lgkmcnt(0)
	v_fmac_f64_e32 v[44:45], v[66:67], v[70:71]
	ds_read_b64 v[70:71], v127 offset:648
	v_mul_f64 v[66:67], v[36:37], v[62:63]
	v_mul_f64 v[66:67], v[76:77], v[66:67]
	s_waitcnt lgkmcnt(0)
	v_fmac_f64_e32 v[44:45], v[66:67], v[70:71]
	ds_read_b64 v[70:71], v127 offset:656
	v_mul_f64 v[66:67], v[32:33], v[62:63]
	v_mul_f64 v[66:67], v[72:73], v[66:67]
	s_waitcnt lgkmcnt(0)
	v_fmac_f64_e32 v[44:45], v[66:67], v[70:71]
	ds_read_b64 v[70:71], v127 offset:664
	v_mul_f64 v[66:67], v[26:27], v[62:63]
	v_mul_f64 v[66:67], v[68:69], v[66:67]
	v_mul_f64 v[62:63], v[22:23], v[62:63]
	v_mul_f64 v[62:63], v[64:65], v[62:63]
	s_waitcnt lgkmcnt(0)
	v_fmac_f64_e32 v[44:45], v[66:67], v[70:71]
	ds_read_b64 v[66:67], v127 offset:672
	ds_read_b64 v[70:71], v127 offset:680
	s_waitcnt lgkmcnt(1)
	v_fmac_f64_e32 v[44:45], v[62:63], v[66:67]
	v_mul_f64 v[62:63], v[8:9], v[56:57]
	v_mul_f64 v[62:63], v[10:11], v[62:63]
	v_mul_f64 v[66:67], v[40:41], v[62:63]
	v_mul_f64 v[66:67], v[80:81], v[66:67]
	s_waitcnt lgkmcnt(0)
	v_fmac_f64_e32 v[44:45], v[66:67], v[70:71]
	ds_read_b64 v[70:71], v127 offset:688
	v_mul_f64 v[66:67], v[36:37], v[62:63]
	v_mul_f64 v[66:67], v[76:77], v[66:67]
	s_waitcnt lgkmcnt(0)
	v_fmac_f64_e32 v[44:45], v[66:67], v[70:71]
	ds_read_b64 v[70:71], v127 offset:696
	v_mul_f64 v[66:67], v[32:33], v[62:63]
	v_mul_f64 v[66:67], v[72:73], v[66:67]
	s_waitcnt lgkmcnt(0)
	v_fmac_f64_e32 v[44:45], v[66:67], v[70:71]
	ds_read_b64 v[70:71], v127 offset:704
	v_mul_f64 v[66:67], v[26:27], v[62:63]
	v_mul_f64 v[66:67], v[68:69], v[66:67]
	v_mul_f64 v[62:63], v[22:23], v[62:63]
	v_mul_f64 v[62:63], v[64:65], v[62:63]
	s_waitcnt lgkmcnt(0)
	v_fmac_f64_e32 v[44:45], v[66:67], v[70:71]
	ds_read_b64 v[66:67], v127 offset:712
	ds_read_b64 v[70:71], v127 offset:720
	s_waitcnt lgkmcnt(1)
	v_fmac_f64_e32 v[44:45], v[62:63], v[66:67]
	v_mul_f64 v[62:63], v[4:5], v[56:57]
	v_mul_f64 v[62:63], v[6:7], v[62:63]
	v_mul_f64 v[66:67], v[40:41], v[62:63]
	v_mul_f64 v[66:67], v[80:81], v[66:67]
	s_waitcnt lgkmcnt(0)
	v_fmac_f64_e32 v[44:45], v[66:67], v[70:71]
	ds_read_b64 v[70:71], v127 offset:728
	v_mul_f64 v[66:67], v[36:37], v[62:63]
	v_mul_f64 v[66:67], v[76:77], v[66:67]
	;; [unrolled: 1-line block ×4, first 2 shown]
	s_waitcnt lgkmcnt(0)
	v_fmac_f64_e32 v[44:45], v[66:67], v[70:71]
	ds_read_b64 v[70:71], v127 offset:736
	v_mul_f64 v[66:67], v[32:33], v[62:63]
	v_mul_f64 v[66:67], v[72:73], v[66:67]
	s_waitcnt lgkmcnt(0)
	v_fmac_f64_e32 v[44:45], v[66:67], v[70:71]
	ds_read_b64 v[70:71], v127 offset:744
	v_mul_f64 v[66:67], v[26:27], v[62:63]
	v_mul_f64 v[66:67], v[68:69], v[66:67]
	;; [unrolled: 1-line block ×4, first 2 shown]
	s_waitcnt lgkmcnt(0)
	v_fmac_f64_e32 v[44:45], v[66:67], v[70:71]
	ds_read_b64 v[66:67], v127 offset:752
	s_waitcnt lgkmcnt(0)
	v_fmac_f64_e32 v[44:45], v[62:63], v[66:67]
	ds_read_b64 v[66:67], v127 offset:760
	v_mul_f64 v[62:63], v[40:41], v[56:57]
	v_mul_f64 v[62:63], v[80:81], v[62:63]
	s_waitcnt lgkmcnt(0)
	v_fmac_f64_e32 v[44:45], v[62:63], v[66:67]
	ds_read_b64 v[66:67], v127 offset:768
	v_mul_f64 v[62:63], v[36:37], v[56:57]
	v_mul_f64 v[62:63], v[76:77], v[62:63]
	;; [unrolled: 5-line block ×4, first 2 shown]
	v_mul_f64 v[56:57], v[22:23], v[56:57]
	v_mul_f64 v[56:57], v[64:65], v[56:57]
	s_waitcnt lgkmcnt(0)
	v_fmac_f64_e32 v[44:45], v[62:63], v[66:67]
	ds_read_b64 v[62:63], v127 offset:792
	s_waitcnt lgkmcnt(0)
	v_fmac_f64_e32 v[44:45], v[56:57], v[62:63]
	ds_read_b64 v[56:57], v126 offset:128
	ds_read_b64 v[62:63], v252 offset:128
	s_waitcnt lgkmcnt(0)
	v_mul_f64 v[56:57], v[56:57], v[62:63]
	ds_read_b64 v[62:63], v127 offset:800
	v_mul_f64 v[28:29], v[28:29], v[56:57]
	v_mul_f64 v[28:29], v[30:31], v[28:29]
	v_mul_f64 v[30:31], v[40:41], v[28:29]
	v_mul_f64 v[30:31], v[80:81], v[30:31]
	s_waitcnt lgkmcnt(0)
	v_fmac_f64_e32 v[44:45], v[62:63], v[30:31]
	ds_read_b64 v[62:63], v127 offset:808
	v_mul_f64 v[30:31], v[36:37], v[28:29]
	v_mul_f64 v[30:31], v[76:77], v[30:31]
	v_mul_f64 v[12:13], v[12:13], v[56:57]
	v_mul_f64 v[12:13], v[14:15], v[12:13]
	s_waitcnt lgkmcnt(0)
	v_fmac_f64_e32 v[44:45], v[62:63], v[30:31]
	;; [unrolled: 7-line block ×6, first 2 shown]
	ds_read_b64 v[28:29], v127 offset:848
	v_mul_f64 v[14:15], v[36:37], v[12:13]
	v_mul_f64 v[14:15], v[76:77], v[14:15]
	s_waitcnt lgkmcnt(0)
	v_fmac_f64_e32 v[44:45], v[14:15], v[28:29]
	ds_read_b64 v[28:29], v127 offset:856
	v_mul_f64 v[14:15], v[32:33], v[12:13]
	v_mul_f64 v[14:15], v[72:73], v[14:15]
	s_waitcnt lgkmcnt(0)
	v_fmac_f64_e32 v[44:45], v[14:15], v[28:29]
	ds_read_b64 v[28:29], v127 offset:864
	v_mul_f64 v[14:15], v[26:27], v[12:13]
	v_mul_f64 v[14:15], v[68:69], v[14:15]
	;; [unrolled: 1-line block ×4, first 2 shown]
	s_waitcnt lgkmcnt(0)
	v_fmac_f64_e32 v[44:45], v[14:15], v[28:29]
	ds_read_b64 v[14:15], v127 offset:872
	s_waitcnt lgkmcnt(0)
	v_fmac_f64_e32 v[44:45], v[12:13], v[14:15]
	ds_read_b64 v[12:13], v127 offset:880
	;; [unrolled: 3-line block ×3, first 2 shown]
	v_mul_f64 v[10:11], v[36:37], v[8:9]
	v_mul_f64 v[10:11], v[76:77], v[10:11]
	s_waitcnt lgkmcnt(0)
	v_fmac_f64_e32 v[44:45], v[10:11], v[12:13]
	ds_read_b64 v[12:13], v127 offset:896
	v_mul_f64 v[10:11], v[32:33], v[8:9]
	v_mul_f64 v[10:11], v[72:73], v[10:11]
	s_waitcnt lgkmcnt(0)
	v_fmac_f64_e32 v[44:45], v[10:11], v[12:13]
	ds_read_b64 v[12:13], v127 offset:904
	v_mul_f64 v[10:11], v[26:27], v[8:9]
	v_mul_f64 v[10:11], v[68:69], v[10:11]
	;; [unrolled: 1-line block ×4, first 2 shown]
	s_waitcnt lgkmcnt(0)
	v_fmac_f64_e32 v[44:45], v[10:11], v[12:13]
	ds_read_b64 v[10:11], v127 offset:912
	s_waitcnt lgkmcnt(0)
	v_fmac_f64_e32 v[44:45], v[8:9], v[10:11]
	ds_read_b64 v[8:9], v127 offset:920
	;; [unrolled: 3-line block ×3, first 2 shown]
	v_mul_f64 v[6:7], v[36:37], v[4:5]
	v_mul_f64 v[6:7], v[76:77], v[6:7]
	s_waitcnt lgkmcnt(0)
	v_fmac_f64_e32 v[44:45], v[6:7], v[8:9]
	ds_read_b64 v[8:9], v127 offset:936
	v_mul_f64 v[6:7], v[32:33], v[4:5]
	v_mul_f64 v[6:7], v[72:73], v[6:7]
	s_waitcnt lgkmcnt(0)
	v_fmac_f64_e32 v[44:45], v[6:7], v[8:9]
	ds_read_b64 v[8:9], v127 offset:944
	v_mul_f64 v[6:7], v[26:27], v[4:5]
	v_mul_f64 v[6:7], v[68:69], v[6:7]
	;; [unrolled: 1-line block ×4, first 2 shown]
	s_waitcnt lgkmcnt(0)
	v_fmac_f64_e32 v[44:45], v[6:7], v[8:9]
	ds_read_b64 v[6:7], v127 offset:952
	ds_read_b64 v[8:9], v127 offset:960
	s_waitcnt lgkmcnt(1)
	v_fmac_f64_e32 v[44:45], v[4:5], v[6:7]
	v_mul_f64 v[4:5], v[48:49], v[56:57]
	v_mul_f64 v[4:5], v[52:53], v[4:5]
	;; [unrolled: 1-line block ×4, first 2 shown]
	s_waitcnt lgkmcnt(0)
	v_fmac_f64_e32 v[44:45], v[6:7], v[8:9]
	ds_read_b64 v[8:9], v127 offset:968
	v_mul_f64 v[6:7], v[36:37], v[4:5]
	v_mul_f64 v[6:7], v[76:77], v[6:7]
	s_waitcnt lgkmcnt(0)
	v_fmac_f64_e32 v[44:45], v[6:7], v[8:9]
	ds_read_b64 v[8:9], v127 offset:976
	v_mul_f64 v[6:7], v[32:33], v[4:5]
	v_mul_f64 v[6:7], v[72:73], v[6:7]
	;; [unrolled: 5-line block ×3, first 2 shown]
	v_mul_f64 v[4:5], v[22:23], v[4:5]
	v_mul_f64 v[4:5], v[64:65], v[4:5]
	s_waitcnt lgkmcnt(0)
	v_fmac_f64_e32 v[44:45], v[6:7], v[8:9]
	ds_read_b64 v[6:7], v127 offset:992
	s_waitcnt lgkmcnt(0)
	v_fmac_f64_e32 v[44:45], v[4:5], v[6:7]
	global_store_dwordx2 v[18:19], v[44:45], off offset:2048
	ds_read_b64 v[36:37], v125
	ds_read_b64 v[32:33], v125 offset:32
	ds_read_b64 v[26:27], v125 offset:64
	;; [unrolled: 1-line block ×5, first 2 shown]
	ds_read_b64 v[30:31], v124
	ds_read_b64 v[12:13], v124 offset:32
	ds_read_b64 v[14:15], v127 offset:1064
	ds_read_b64 v[8:9], v124 offset:64
	ds_read_b64 v[10:11], v127 offset:1096
	ds_read_b64 v[4:5], v124 offset:96
	ds_read_b64 v[6:7], v127 offset:1128
	ds_read_b64 v[44:45], v124 offset:128
	ds_read_b64 v[48:49], v127 offset:1160
	ds_read_b64 v[40:41], v126
	ds_read_b64 v[52:53], v126 offset:32
	ds_read_b64 v[56:57], v252
	ds_read_b64 v[62:63], v252 offset:32
	ds_read_b64 v[66:67], v127
	ds_read_b64 v[68:69], v127 offset:8
	ds_read_b64 v[70:71], v127 offset:16
	ds_read_b64 v[72:73], v127 offset:24
	;; [unrolled: 1-line block ×6, first 2 shown]
	s_waitcnt lgkmcnt(9)
	v_mul_f64 v[56:57], v[40:41], v[56:57]
	v_mul_f64 v[40:41], v[30:31], v[56:57]
	;; [unrolled: 1-line block ×5, first 2 shown]
	s_waitcnt lgkmcnt(7)
	v_fma_f64 v[40:41], v[66:67], v[40:41], 0
	v_mul_f64 v[66:67], v[32:33], v[64:65]
	v_mul_f64 v[66:67], v[242:243], v[66:67]
	s_waitcnt lgkmcnt(6)
	v_fmac_f64_e32 v[40:41], v[68:69], v[66:67]
	v_mul_f64 v[66:67], v[26:27], v[64:65]
	v_mul_f64 v[66:67], v[238:239], v[66:67]
	s_waitcnt lgkmcnt(5)
	v_fmac_f64_e32 v[40:41], v[70:71], v[66:67]
	v_mul_f64 v[66:67], v[22:23], v[64:65]
	v_mul_f64 v[66:67], v[246:247], v[66:67]
	v_mul_f64 v[64:65], v[18:19], v[64:65]
	s_waitcnt lgkmcnt(4)
	v_fmac_f64_e32 v[40:41], v[72:73], v[66:67]
	v_mul_f64 v[64:65], v[118:119], v[64:65]
	s_waitcnt lgkmcnt(3)
	v_fmac_f64_e32 v[40:41], v[64:65], v[74:75]
	v_mul_f64 v[64:65], v[12:13], v[56:57]
	v_mul_f64 v[64:65], v[14:15], v[64:65]
	;; [unrolled: 1-line block ×4, first 2 shown]
	s_waitcnt lgkmcnt(2)
	v_fmac_f64_e32 v[40:41], v[66:67], v[76:77]
	v_mul_f64 v[66:67], v[32:33], v[64:65]
	v_mul_f64 v[66:67], v[242:243], v[66:67]
	ds_read_b64 v[68:69], v127 offset:64
	s_waitcnt lgkmcnt(2)
	v_fmac_f64_e32 v[40:41], v[66:67], v[78:79]
	v_mul_f64 v[66:67], v[26:27], v[64:65]
	v_mul_f64 v[66:67], v[238:239], v[66:67]
	s_waitcnt lgkmcnt(1)
	v_fmac_f64_e32 v[40:41], v[66:67], v[80:81]
	v_mul_f64 v[66:67], v[22:23], v[64:65]
	v_mul_f64 v[66:67], v[246:247], v[66:67]
	s_waitcnt lgkmcnt(0)
	v_fmac_f64_e32 v[40:41], v[66:67], v[68:69]
	ds_read_b64 v[66:67], v127 offset:72
	ds_read_b64 v[68:69], v127 offset:80
	v_mul_f64 v[64:65], v[18:19], v[64:65]
	v_mul_f64 v[64:65], v[118:119], v[64:65]
	v_mul_f64 v[52:53], v[52:53], v[62:63]
	s_waitcnt lgkmcnt(1)
	v_fmac_f64_e32 v[40:41], v[64:65], v[66:67]
	v_mul_f64 v[64:65], v[8:9], v[56:57]
	v_mul_f64 v[64:65], v[10:11], v[64:65]
	;; [unrolled: 1-line block ×4, first 2 shown]
	s_waitcnt lgkmcnt(0)
	v_fmac_f64_e32 v[40:41], v[66:67], v[68:69]
	ds_read_b64 v[68:69], v127 offset:88
	v_mul_f64 v[66:67], v[32:33], v[64:65]
	v_mul_f64 v[66:67], v[242:243], v[66:67]
	s_waitcnt lgkmcnt(0)
	v_fmac_f64_e32 v[40:41], v[66:67], v[68:69]
	ds_read_b64 v[68:69], v127 offset:96
	v_mul_f64 v[66:67], v[26:27], v[64:65]
	v_mul_f64 v[66:67], v[238:239], v[66:67]
	;; [unrolled: 5-line block ×3, first 2 shown]
	v_mul_f64 v[64:65], v[18:19], v[64:65]
	v_mul_f64 v[64:65], v[118:119], v[64:65]
	s_waitcnt lgkmcnt(0)
	v_fmac_f64_e32 v[40:41], v[66:67], v[68:69]
	ds_read_b64 v[66:67], v127 offset:112
	ds_read_b64 v[68:69], v127 offset:120
	s_waitcnt lgkmcnt(1)
	v_fmac_f64_e32 v[40:41], v[64:65], v[66:67]
	v_mul_f64 v[64:65], v[4:5], v[56:57]
	v_mul_f64 v[64:65], v[6:7], v[64:65]
	;; [unrolled: 1-line block ×4, first 2 shown]
	s_waitcnt lgkmcnt(0)
	v_fmac_f64_e32 v[40:41], v[66:67], v[68:69]
	ds_read_b64 v[68:69], v127 offset:128
	v_mul_f64 v[66:67], v[32:33], v[64:65]
	v_mul_f64 v[66:67], v[242:243], v[66:67]
	v_mul_f64 v[56:57], v[44:45], v[56:57]
	v_mul_f64 v[56:57], v[48:49], v[56:57]
	s_waitcnt lgkmcnt(0)
	v_fmac_f64_e32 v[40:41], v[66:67], v[68:69]
	ds_read_b64 v[68:69], v127 offset:136
	v_mul_f64 v[66:67], v[26:27], v[64:65]
	v_mul_f64 v[66:67], v[238:239], v[66:67]
	s_waitcnt lgkmcnt(0)
	v_fmac_f64_e32 v[40:41], v[66:67], v[68:69]
	ds_read_b64 v[68:69], v127 offset:144
	v_mul_f64 v[66:67], v[22:23], v[64:65]
	v_mul_f64 v[66:67], v[246:247], v[66:67]
	;; [unrolled: 1-line block ×4, first 2 shown]
	s_waitcnt lgkmcnt(0)
	v_fmac_f64_e32 v[40:41], v[66:67], v[68:69]
	ds_read_b64 v[66:67], v127 offset:152
	s_waitcnt lgkmcnt(0)
	v_fmac_f64_e32 v[40:41], v[64:65], v[66:67]
	ds_read_b64 v[66:67], v127 offset:160
	v_mul_f64 v[64:65], v[36:37], v[56:57]
	v_mul_f64 v[64:65], v[228:229], v[64:65]
	s_waitcnt lgkmcnt(0)
	v_fmac_f64_e32 v[40:41], v[64:65], v[66:67]
	ds_read_b64 v[66:67], v127 offset:168
	v_mul_f64 v[64:65], v[32:33], v[56:57]
	v_mul_f64 v[64:65], v[242:243], v[64:65]
	;; [unrolled: 5-line block ×4, first 2 shown]
	v_mul_f64 v[56:57], v[18:19], v[56:57]
	v_mul_f64 v[56:57], v[118:119], v[56:57]
	s_waitcnt lgkmcnt(0)
	v_fmac_f64_e32 v[40:41], v[64:65], v[66:67]
	ds_read_b64 v[64:65], v127 offset:192
	s_waitcnt lgkmcnt(0)
	v_fmac_f64_e32 v[40:41], v[56:57], v[64:65]
	ds_read_b64 v[64:65], v127 offset:200
	v_mul_f64 v[56:57], v[30:31], v[52:53]
	v_mul_f64 v[56:57], v[28:29], v[56:57]
	v_mul_f64 v[62:63], v[36:37], v[56:57]
	v_mul_f64 v[62:63], v[228:229], v[62:63]
	s_waitcnt lgkmcnt(0)
	v_fmac_f64_e32 v[40:41], v[64:65], v[62:63]
	ds_read_b64 v[64:65], v127 offset:208
	v_mul_f64 v[62:63], v[32:33], v[56:57]
	v_mul_f64 v[62:63], v[242:243], v[62:63]
	s_waitcnt lgkmcnt(0)
	v_fmac_f64_e32 v[40:41], v[64:65], v[62:63]
	ds_read_b64 v[64:65], v127 offset:216
	v_mul_f64 v[62:63], v[26:27], v[56:57]
	v_mul_f64 v[62:63], v[238:239], v[62:63]
	s_waitcnt lgkmcnt(0)
	v_fmac_f64_e32 v[40:41], v[64:65], v[62:63]
	ds_read_b64 v[64:65], v127 offset:224
	v_mul_f64 v[62:63], v[22:23], v[56:57]
	v_mul_f64 v[62:63], v[246:247], v[62:63]
	v_mul_f64 v[56:57], v[18:19], v[56:57]
	v_mul_f64 v[56:57], v[118:119], v[56:57]
	s_waitcnt lgkmcnt(0)
	v_fmac_f64_e32 v[40:41], v[64:65], v[62:63]
	ds_read_b64 v[62:63], v127 offset:232
	ds_read_b64 v[64:65], v127 offset:240
	s_waitcnt lgkmcnt(1)
	v_fmac_f64_e32 v[40:41], v[56:57], v[62:63]
	v_mul_f64 v[56:57], v[12:13], v[52:53]
	v_mul_f64 v[56:57], v[14:15], v[56:57]
	v_mul_f64 v[62:63], v[36:37], v[56:57]
	v_mul_f64 v[62:63], v[228:229], v[62:63]
	s_waitcnt lgkmcnt(0)
	v_fmac_f64_e32 v[40:41], v[62:63], v[64:65]
	ds_read_b64 v[64:65], v127 offset:248
	v_mul_f64 v[62:63], v[32:33], v[56:57]
	v_mul_f64 v[62:63], v[242:243], v[62:63]
	s_waitcnt lgkmcnt(0)
	v_fmac_f64_e32 v[40:41], v[62:63], v[64:65]
	ds_read_b64 v[64:65], v127 offset:256
	v_mul_f64 v[62:63], v[26:27], v[56:57]
	v_mul_f64 v[62:63], v[238:239], v[62:63]
	s_waitcnt lgkmcnt(0)
	v_fmac_f64_e32 v[40:41], v[62:63], v[64:65]
	ds_read_b64 v[64:65], v127 offset:264
	v_mul_f64 v[62:63], v[22:23], v[56:57]
	v_mul_f64 v[62:63], v[246:247], v[62:63]
	v_mul_f64 v[56:57], v[18:19], v[56:57]
	v_mul_f64 v[56:57], v[118:119], v[56:57]
	s_waitcnt lgkmcnt(0)
	v_fmac_f64_e32 v[40:41], v[62:63], v[64:65]
	ds_read_b64 v[62:63], v127 offset:272
	ds_read_b64 v[64:65], v127 offset:280
	s_waitcnt lgkmcnt(1)
	v_fmac_f64_e32 v[40:41], v[56:57], v[62:63]
	;; [unrolled: 27-line block ×3, first 2 shown]
	v_mul_f64 v[56:57], v[4:5], v[52:53]
	v_mul_f64 v[56:57], v[6:7], v[56:57]
	;; [unrolled: 1-line block ×4, first 2 shown]
	s_waitcnt lgkmcnt(0)
	v_fmac_f64_e32 v[40:41], v[62:63], v[64:65]
	ds_read_b64 v[64:65], v127 offset:328
	v_mul_f64 v[62:63], v[32:33], v[56:57]
	v_mul_f64 v[62:63], v[242:243], v[62:63]
	;; [unrolled: 1-line block ×4, first 2 shown]
	s_waitcnt lgkmcnt(0)
	v_fmac_f64_e32 v[40:41], v[62:63], v[64:65]
	ds_read_b64 v[64:65], v127 offset:336
	v_mul_f64 v[62:63], v[26:27], v[56:57]
	v_mul_f64 v[62:63], v[238:239], v[62:63]
	s_waitcnt lgkmcnt(0)
	v_fmac_f64_e32 v[40:41], v[62:63], v[64:65]
	ds_read_b64 v[64:65], v127 offset:344
	v_mul_f64 v[62:63], v[22:23], v[56:57]
	v_mul_f64 v[62:63], v[246:247], v[62:63]
	;; [unrolled: 1-line block ×4, first 2 shown]
	s_waitcnt lgkmcnt(0)
	v_fmac_f64_e32 v[40:41], v[62:63], v[64:65]
	ds_read_b64 v[62:63], v127 offset:352
	s_waitcnt lgkmcnt(0)
	v_fmac_f64_e32 v[40:41], v[56:57], v[62:63]
	ds_read_b64 v[62:63], v127 offset:360
	v_mul_f64 v[56:57], v[36:37], v[52:53]
	v_mul_f64 v[56:57], v[228:229], v[56:57]
	s_waitcnt lgkmcnt(0)
	v_fmac_f64_e32 v[40:41], v[56:57], v[62:63]
	ds_read_b64 v[62:63], v127 offset:368
	v_mul_f64 v[56:57], v[32:33], v[52:53]
	v_mul_f64 v[56:57], v[242:243], v[56:57]
	;; [unrolled: 5-line block ×4, first 2 shown]
	v_mul_f64 v[52:53], v[18:19], v[52:53]
	v_mul_f64 v[52:53], v[118:119], v[52:53]
	s_waitcnt lgkmcnt(0)
	v_fmac_f64_e32 v[40:41], v[56:57], v[62:63]
	ds_read_b64 v[56:57], v127 offset:392
	s_waitcnt lgkmcnt(0)
	v_fmac_f64_e32 v[40:41], v[52:53], v[56:57]
	ds_read_b64 v[52:53], v126 offset:64
	ds_read_b64 v[56:57], v252 offset:64
	;; [unrolled: 1-line block ×3, first 2 shown]
	s_waitcnt lgkmcnt(1)
	v_mul_f64 v[52:53], v[52:53], v[56:57]
	v_mul_f64 v[56:57], v[30:31], v[52:53]
	;; [unrolled: 1-line block ×5, first 2 shown]
	s_waitcnt lgkmcnt(0)
	v_fmac_f64_e32 v[40:41], v[64:65], v[62:63]
	ds_read_b64 v[64:65], v127 offset:408
	v_mul_f64 v[62:63], v[32:33], v[56:57]
	v_mul_f64 v[62:63], v[242:243], v[62:63]
	s_waitcnt lgkmcnt(0)
	v_fmac_f64_e32 v[40:41], v[64:65], v[62:63]
	ds_read_b64 v[64:65], v127 offset:416
	v_mul_f64 v[62:63], v[26:27], v[56:57]
	v_mul_f64 v[62:63], v[238:239], v[62:63]
	s_waitcnt lgkmcnt(0)
	v_fmac_f64_e32 v[40:41], v[64:65], v[62:63]
	ds_read_b64 v[64:65], v127 offset:424
	v_mul_f64 v[62:63], v[22:23], v[56:57]
	v_mul_f64 v[62:63], v[246:247], v[62:63]
	v_mul_f64 v[56:57], v[18:19], v[56:57]
	v_mul_f64 v[56:57], v[118:119], v[56:57]
	s_waitcnt lgkmcnt(0)
	v_fmac_f64_e32 v[40:41], v[64:65], v[62:63]
	ds_read_b64 v[62:63], v127 offset:432
	ds_read_b64 v[64:65], v127 offset:440
	s_waitcnt lgkmcnt(1)
	v_fmac_f64_e32 v[40:41], v[56:57], v[62:63]
	v_mul_f64 v[56:57], v[12:13], v[52:53]
	v_mul_f64 v[56:57], v[14:15], v[56:57]
	v_mul_f64 v[62:63], v[36:37], v[56:57]
	v_mul_f64 v[62:63], v[228:229], v[62:63]
	s_waitcnt lgkmcnt(0)
	v_fmac_f64_e32 v[40:41], v[62:63], v[64:65]
	ds_read_b64 v[64:65], v127 offset:448
	v_mul_f64 v[62:63], v[32:33], v[56:57]
	v_mul_f64 v[62:63], v[242:243], v[62:63]
	s_waitcnt lgkmcnt(0)
	v_fmac_f64_e32 v[40:41], v[62:63], v[64:65]
	ds_read_b64 v[64:65], v127 offset:456
	v_mul_f64 v[62:63], v[26:27], v[56:57]
	v_mul_f64 v[62:63], v[238:239], v[62:63]
	s_waitcnt lgkmcnt(0)
	v_fmac_f64_e32 v[40:41], v[62:63], v[64:65]
	ds_read_b64 v[64:65], v127 offset:464
	v_mul_f64 v[62:63], v[22:23], v[56:57]
	v_mul_f64 v[62:63], v[246:247], v[62:63]
	v_mul_f64 v[56:57], v[18:19], v[56:57]
	v_mul_f64 v[56:57], v[118:119], v[56:57]
	s_waitcnt lgkmcnt(0)
	v_fmac_f64_e32 v[40:41], v[62:63], v[64:65]
	ds_read_b64 v[62:63], v127 offset:472
	ds_read_b64 v[64:65], v127 offset:480
	s_waitcnt lgkmcnt(1)
	v_fmac_f64_e32 v[40:41], v[56:57], v[62:63]
	v_mul_f64 v[56:57], v[8:9], v[52:53]
	v_mul_f64 v[56:57], v[10:11], v[56:57]
	v_mul_f64 v[62:63], v[36:37], v[56:57]
	v_mul_f64 v[62:63], v[228:229], v[62:63]
	;; [unrolled: 27-line block ×3, first 2 shown]
	s_waitcnt lgkmcnt(0)
	v_fmac_f64_e32 v[40:41], v[62:63], v[64:65]
	ds_read_b64 v[64:65], v127 offset:528
	v_mul_f64 v[62:63], v[32:33], v[56:57]
	v_mul_f64 v[62:63], v[242:243], v[62:63]
	;; [unrolled: 1-line block ×4, first 2 shown]
	s_waitcnt lgkmcnt(0)
	v_fmac_f64_e32 v[40:41], v[62:63], v[64:65]
	ds_read_b64 v[64:65], v127 offset:536
	v_mul_f64 v[62:63], v[26:27], v[56:57]
	v_mul_f64 v[62:63], v[238:239], v[62:63]
	s_waitcnt lgkmcnt(0)
	v_fmac_f64_e32 v[40:41], v[62:63], v[64:65]
	ds_read_b64 v[64:65], v127 offset:544
	v_mul_f64 v[62:63], v[22:23], v[56:57]
	v_mul_f64 v[62:63], v[246:247], v[62:63]
	;; [unrolled: 1-line block ×4, first 2 shown]
	s_waitcnt lgkmcnt(0)
	v_fmac_f64_e32 v[40:41], v[62:63], v[64:65]
	ds_read_b64 v[62:63], v127 offset:552
	s_waitcnt lgkmcnt(0)
	v_fmac_f64_e32 v[40:41], v[56:57], v[62:63]
	ds_read_b64 v[62:63], v127 offset:560
	v_mul_f64 v[56:57], v[36:37], v[52:53]
	v_mul_f64 v[56:57], v[228:229], v[56:57]
	s_waitcnt lgkmcnt(0)
	v_fmac_f64_e32 v[40:41], v[56:57], v[62:63]
	ds_read_b64 v[62:63], v127 offset:568
	v_mul_f64 v[56:57], v[32:33], v[52:53]
	v_mul_f64 v[56:57], v[242:243], v[56:57]
	;; [unrolled: 5-line block ×4, first 2 shown]
	v_mul_f64 v[52:53], v[18:19], v[52:53]
	v_mul_f64 v[52:53], v[118:119], v[52:53]
	s_waitcnt lgkmcnt(0)
	v_fmac_f64_e32 v[40:41], v[56:57], v[62:63]
	ds_read_b64 v[56:57], v127 offset:592
	s_waitcnt lgkmcnt(0)
	v_fmac_f64_e32 v[40:41], v[52:53], v[56:57]
	ds_read_b64 v[52:53], v126 offset:96
	ds_read_b64 v[56:57], v252 offset:96
	;; [unrolled: 1-line block ×3, first 2 shown]
	s_waitcnt lgkmcnt(1)
	v_mul_f64 v[52:53], v[52:53], v[56:57]
	v_mul_f64 v[56:57], v[30:31], v[52:53]
	;; [unrolled: 1-line block ×5, first 2 shown]
	s_waitcnt lgkmcnt(0)
	v_fmac_f64_e32 v[40:41], v[64:65], v[62:63]
	ds_read_b64 v[64:65], v127 offset:608
	v_mul_f64 v[62:63], v[32:33], v[56:57]
	v_mul_f64 v[62:63], v[242:243], v[62:63]
	s_waitcnt lgkmcnt(0)
	v_fmac_f64_e32 v[40:41], v[64:65], v[62:63]
	ds_read_b64 v[64:65], v127 offset:616
	v_mul_f64 v[62:63], v[26:27], v[56:57]
	v_mul_f64 v[62:63], v[238:239], v[62:63]
	s_waitcnt lgkmcnt(0)
	v_fmac_f64_e32 v[40:41], v[64:65], v[62:63]
	ds_read_b64 v[64:65], v127 offset:624
	v_mul_f64 v[62:63], v[22:23], v[56:57]
	v_mul_f64 v[62:63], v[246:247], v[62:63]
	v_mul_f64 v[56:57], v[18:19], v[56:57]
	v_mul_f64 v[56:57], v[118:119], v[56:57]
	s_waitcnt lgkmcnt(0)
	v_fmac_f64_e32 v[40:41], v[64:65], v[62:63]
	ds_read_b64 v[62:63], v127 offset:632
	ds_read_b64 v[64:65], v127 offset:640
	s_waitcnt lgkmcnt(1)
	v_fmac_f64_e32 v[40:41], v[56:57], v[62:63]
	v_mul_f64 v[56:57], v[12:13], v[52:53]
	v_mul_f64 v[56:57], v[14:15], v[56:57]
	v_mul_f64 v[62:63], v[36:37], v[56:57]
	v_mul_f64 v[62:63], v[228:229], v[62:63]
	s_waitcnt lgkmcnt(0)
	v_fmac_f64_e32 v[40:41], v[62:63], v[64:65]
	ds_read_b64 v[64:65], v127 offset:648
	v_mul_f64 v[62:63], v[32:33], v[56:57]
	v_mul_f64 v[62:63], v[242:243], v[62:63]
	s_waitcnt lgkmcnt(0)
	v_fmac_f64_e32 v[40:41], v[62:63], v[64:65]
	ds_read_b64 v[64:65], v127 offset:656
	v_mul_f64 v[62:63], v[26:27], v[56:57]
	v_mul_f64 v[62:63], v[238:239], v[62:63]
	s_waitcnt lgkmcnt(0)
	v_fmac_f64_e32 v[40:41], v[62:63], v[64:65]
	ds_read_b64 v[64:65], v127 offset:664
	v_mul_f64 v[62:63], v[22:23], v[56:57]
	v_mul_f64 v[62:63], v[246:247], v[62:63]
	v_mul_f64 v[56:57], v[18:19], v[56:57]
	v_mul_f64 v[56:57], v[118:119], v[56:57]
	s_waitcnt lgkmcnt(0)
	v_fmac_f64_e32 v[40:41], v[62:63], v[64:65]
	ds_read_b64 v[62:63], v127 offset:672
	ds_read_b64 v[64:65], v127 offset:680
	s_waitcnt lgkmcnt(1)
	v_fmac_f64_e32 v[40:41], v[56:57], v[62:63]
	v_mul_f64 v[56:57], v[8:9], v[52:53]
	v_mul_f64 v[56:57], v[10:11], v[56:57]
	v_mul_f64 v[62:63], v[36:37], v[56:57]
	v_mul_f64 v[62:63], v[228:229], v[62:63]
	;; [unrolled: 27-line block ×3, first 2 shown]
	s_waitcnt lgkmcnt(0)
	v_fmac_f64_e32 v[40:41], v[62:63], v[64:65]
	ds_read_b64 v[64:65], v127 offset:728
	v_mul_f64 v[62:63], v[32:33], v[56:57]
	v_mul_f64 v[62:63], v[242:243], v[62:63]
	;; [unrolled: 1-line block ×4, first 2 shown]
	s_waitcnt lgkmcnt(0)
	v_fmac_f64_e32 v[40:41], v[62:63], v[64:65]
	ds_read_b64 v[64:65], v127 offset:736
	v_mul_f64 v[62:63], v[26:27], v[56:57]
	v_mul_f64 v[62:63], v[238:239], v[62:63]
	s_waitcnt lgkmcnt(0)
	v_fmac_f64_e32 v[40:41], v[62:63], v[64:65]
	ds_read_b64 v[64:65], v127 offset:744
	v_mul_f64 v[62:63], v[22:23], v[56:57]
	v_mul_f64 v[62:63], v[246:247], v[62:63]
	;; [unrolled: 1-line block ×4, first 2 shown]
	s_waitcnt lgkmcnt(0)
	v_fmac_f64_e32 v[40:41], v[62:63], v[64:65]
	ds_read_b64 v[62:63], v127 offset:752
	s_waitcnt lgkmcnt(0)
	v_fmac_f64_e32 v[40:41], v[56:57], v[62:63]
	ds_read_b64 v[62:63], v127 offset:760
	v_mul_f64 v[56:57], v[36:37], v[52:53]
	v_mul_f64 v[56:57], v[228:229], v[56:57]
	s_waitcnt lgkmcnt(0)
	v_fmac_f64_e32 v[40:41], v[56:57], v[62:63]
	ds_read_b64 v[62:63], v127 offset:768
	v_mul_f64 v[56:57], v[32:33], v[52:53]
	v_mul_f64 v[56:57], v[242:243], v[56:57]
	;; [unrolled: 5-line block ×4, first 2 shown]
	v_mul_f64 v[52:53], v[18:19], v[52:53]
	v_mul_f64 v[52:53], v[118:119], v[52:53]
	s_waitcnt lgkmcnt(0)
	v_fmac_f64_e32 v[40:41], v[56:57], v[62:63]
	ds_read_b64 v[56:57], v127 offset:792
	s_waitcnt lgkmcnt(0)
	v_fmac_f64_e32 v[40:41], v[52:53], v[56:57]
	ds_read_b64 v[52:53], v126 offset:128
	ds_read_b64 v[56:57], v252 offset:128
	s_waitcnt lgkmcnt(0)
	v_mul_f64 v[52:53], v[52:53], v[56:57]
	ds_read_b64 v[56:57], v127 offset:800
	v_mul_f64 v[30:31], v[30:31], v[52:53]
	v_mul_f64 v[28:29], v[28:29], v[30:31]
	v_mul_f64 v[30:31], v[36:37], v[28:29]
	v_mul_f64 v[30:31], v[228:229], v[30:31]
	s_waitcnt lgkmcnt(0)
	v_fmac_f64_e32 v[40:41], v[56:57], v[30:31]
	ds_read_b64 v[56:57], v127 offset:808
	v_mul_f64 v[30:31], v[32:33], v[28:29]
	v_mul_f64 v[30:31], v[242:243], v[30:31]
	v_mul_f64 v[12:13], v[12:13], v[52:53]
	v_mul_f64 v[12:13], v[14:15], v[12:13]
	s_waitcnt lgkmcnt(0)
	v_fmac_f64_e32 v[40:41], v[56:57], v[30:31]
	;; [unrolled: 7-line block ×6, first 2 shown]
	ds_read_b64 v[28:29], v127 offset:848
	v_mul_f64 v[14:15], v[32:33], v[12:13]
	v_mul_f64 v[14:15], v[242:243], v[14:15]
	v_accvgpr_read_b32 v57, a9
	v_accvgpr_read_b32 v56, a8
	s_waitcnt lgkmcnt(0)
	v_fmac_f64_e32 v[40:41], v[14:15], v[28:29]
	ds_read_b64 v[28:29], v127 offset:856
	v_mul_f64 v[14:15], v[26:27], v[12:13]
	v_mul_f64 v[14:15], v[238:239], v[14:15]
	s_waitcnt lgkmcnt(0)
	v_fmac_f64_e32 v[40:41], v[14:15], v[28:29]
	ds_read_b64 v[28:29], v127 offset:864
	v_mul_f64 v[14:15], v[22:23], v[12:13]
	v_mul_f64 v[14:15], v[246:247], v[14:15]
	;; [unrolled: 1-line block ×4, first 2 shown]
	s_waitcnt lgkmcnt(0)
	v_fmac_f64_e32 v[40:41], v[14:15], v[28:29]
	ds_read_b64 v[14:15], v127 offset:872
	s_waitcnt lgkmcnt(0)
	v_fmac_f64_e32 v[40:41], v[12:13], v[14:15]
	ds_read_b64 v[12:13], v127 offset:880
	;; [unrolled: 3-line block ×3, first 2 shown]
	v_mul_f64 v[10:11], v[32:33], v[8:9]
	v_mul_f64 v[10:11], v[242:243], v[10:11]
	s_waitcnt lgkmcnt(0)
	v_fmac_f64_e32 v[40:41], v[10:11], v[12:13]
	ds_read_b64 v[12:13], v127 offset:896
	v_mul_f64 v[10:11], v[26:27], v[8:9]
	v_mul_f64 v[10:11], v[238:239], v[10:11]
	s_waitcnt lgkmcnt(0)
	v_fmac_f64_e32 v[40:41], v[10:11], v[12:13]
	ds_read_b64 v[12:13], v127 offset:904
	v_mul_f64 v[10:11], v[22:23], v[8:9]
	v_mul_f64 v[10:11], v[246:247], v[10:11]
	;; [unrolled: 1-line block ×4, first 2 shown]
	s_waitcnt lgkmcnt(0)
	v_fmac_f64_e32 v[40:41], v[10:11], v[12:13]
	ds_read_b64 v[10:11], v127 offset:912
	s_waitcnt lgkmcnt(0)
	v_fmac_f64_e32 v[40:41], v[8:9], v[10:11]
	ds_read_b64 v[8:9], v127 offset:920
	;; [unrolled: 3-line block ×3, first 2 shown]
	v_mul_f64 v[6:7], v[32:33], v[4:5]
	v_mul_f64 v[6:7], v[242:243], v[6:7]
	s_waitcnt lgkmcnt(0)
	v_fmac_f64_e32 v[40:41], v[6:7], v[8:9]
	ds_read_b64 v[8:9], v127 offset:936
	v_mul_f64 v[6:7], v[26:27], v[4:5]
	v_mul_f64 v[6:7], v[238:239], v[6:7]
	s_waitcnt lgkmcnt(0)
	v_fmac_f64_e32 v[40:41], v[6:7], v[8:9]
	ds_read_b64 v[8:9], v127 offset:944
	v_mul_f64 v[6:7], v[22:23], v[4:5]
	v_mul_f64 v[6:7], v[246:247], v[6:7]
	;; [unrolled: 1-line block ×4, first 2 shown]
	s_waitcnt lgkmcnt(0)
	v_fmac_f64_e32 v[40:41], v[6:7], v[8:9]
	ds_read_b64 v[6:7], v127 offset:952
	ds_read_b64 v[8:9], v127 offset:960
	s_waitcnt lgkmcnt(1)
	v_fmac_f64_e32 v[40:41], v[4:5], v[6:7]
	v_mul_f64 v[4:5], v[44:45], v[52:53]
	v_mul_f64 v[4:5], v[48:49], v[4:5]
	;; [unrolled: 1-line block ×4, first 2 shown]
	s_waitcnt lgkmcnt(0)
	v_fmac_f64_e32 v[40:41], v[6:7], v[8:9]
	ds_read_b64 v[8:9], v127 offset:968
	v_mul_f64 v[6:7], v[32:33], v[4:5]
	v_mul_f64 v[6:7], v[242:243], v[6:7]
	s_waitcnt lgkmcnt(0)
	v_fmac_f64_e32 v[40:41], v[6:7], v[8:9]
	ds_read_b64 v[8:9], v127 offset:976
	v_mul_f64 v[6:7], v[26:27], v[4:5]
	v_mul_f64 v[6:7], v[238:239], v[6:7]
	;; [unrolled: 5-line block ×3, first 2 shown]
	v_mul_f64 v[4:5], v[18:19], v[4:5]
	v_mul_f64 v[4:5], v[118:119], v[4:5]
	s_waitcnt lgkmcnt(0)
	v_fmac_f64_e32 v[40:41], v[6:7], v[8:9]
	ds_read_b64 v[6:7], v127 offset:992
	s_waitcnt lgkmcnt(0)
	v_fmac_f64_e32 v[40:41], v[4:5], v[6:7]
	global_store_dwordx2 v[250:251], v[40:41], off offset:2048
	ds_read_b64 v[12:13], v125
	ds_read_b64 v[10:11], v125 offset:32
	ds_read_b64 v[8:9], v125 offset:64
	;; [unrolled: 1-line block ×4, first 2 shown]
	ds_read_b64 v[32:33], v124
	ds_read_b64 v[30:31], v124 offset:32
	ds_read_b64 v[28:29], v124 offset:64
	;; [unrolled: 1-line block ×5, first 2 shown]
	ds_read_b64 v[14:15], v126
	ds_read_b64 v[36:37], v126 offset:32
	ds_read_b64 v[40:41], v252
	ds_read_b64 v[44:45], v252 offset:32
	s_waitcnt lgkmcnt(1)
	v_mul_f64 v[40:41], v[14:15], v[40:41]
	v_mul_f64 v[14:15], v[32:33], v[40:41]
	;; [unrolled: 1-line block ×6, first 2 shown]
	v_fma_f64 v[14:15], v[150:151], v[14:15], 0
	v_mul_f64 v[52:53], v[220:221], v[52:53]
	v_fmac_f64_e32 v[14:15], v[156:157], v[52:53]
	v_mul_f64 v[52:53], v[8:9], v[48:49]
	v_mul_f64 v[52:53], v[234:235], v[52:53]
	v_fmac_f64_e32 v[14:15], v[154:155], v[52:53]
	v_mul_f64 v[52:53], v[6:7], v[48:49]
	v_mul_f64 v[52:53], v[230:231], v[52:53]
	;; [unrolled: 1-line block ×3, first 2 shown]
	v_fmac_f64_e32 v[14:15], v[152:153], v[52:53]
	v_mul_f64 v[48:49], v[120:121], v[48:49]
	v_fmac_f64_e32 v[14:15], v[48:49], v[144:145]
	v_mul_f64 v[48:49], v[30:31], v[40:41]
	v_mul_f64 v[48:49], v[200:201], v[48:49]
	;; [unrolled: 1-line block ×4, first 2 shown]
	v_fmac_f64_e32 v[14:15], v[52:53], v[56:57]
	v_mul_f64 v[52:53], v[10:11], v[48:49]
	v_mul_f64 v[52:53], v[220:221], v[52:53]
	v_fmac_f64_e32 v[14:15], v[52:53], v[182:183]
	v_mul_f64 v[52:53], v[8:9], v[48:49]
	v_mul_f64 v[52:53], v[234:235], v[52:53]
	v_fmac_f64_e32 v[14:15], v[52:53], v[148:149]
	v_mul_f64 v[52:53], v[6:7], v[48:49]
	v_accvgpr_read_b32 v57, a5
	v_mul_f64 v[52:53], v[230:231], v[52:53]
	v_accvgpr_read_b32 v56, a4
	v_mul_f64 v[48:49], v[4:5], v[48:49]
	v_fmac_f64_e32 v[14:15], v[52:53], v[56:57]
	v_mul_f64 v[48:49], v[120:121], v[48:49]
	v_fmac_f64_e32 v[14:15], v[48:49], v[140:141]
	v_mul_f64 v[48:49], v[28:29], v[40:41]
	v_mul_f64 v[48:49], v[196:197], v[48:49]
	;; [unrolled: 1-line block ×4, first 2 shown]
	v_fmac_f64_e32 v[14:15], v[52:53], v[108:109]
	v_mul_f64 v[52:53], v[10:11], v[48:49]
	v_accvgpr_read_b32 v57, a1
	v_mul_f64 v[52:53], v[220:221], v[52:53]
	v_accvgpr_read_b32 v56, a0
	v_fmac_f64_e32 v[14:15], v[52:53], v[56:57]
	v_mul_f64 v[52:53], v[8:9], v[48:49]
	v_mul_f64 v[52:53], v[234:235], v[52:53]
	v_fmac_f64_e32 v[14:15], v[52:53], v[146:147]
	v_mul_f64 v[52:53], v[6:7], v[48:49]
	v_mul_f64 v[52:53], v[230:231], v[52:53]
	;; [unrolled: 1-line block ×3, first 2 shown]
	v_fmac_f64_e32 v[14:15], v[52:53], v[142:143]
	v_mul_f64 v[48:49], v[120:121], v[48:49]
	v_fmac_f64_e32 v[14:15], v[48:49], v[138:139]
	v_mul_f64 v[48:49], v[26:27], v[40:41]
	v_mul_f64 v[48:49], v[204:205], v[48:49]
	;; [unrolled: 1-line block ×4, first 2 shown]
	v_fmac_f64_e32 v[14:15], v[52:53], v[134:135]
	v_mul_f64 v[52:53], v[10:11], v[48:49]
	v_mul_f64 v[52:53], v[220:221], v[52:53]
	v_fmac_f64_e32 v[14:15], v[52:53], v[90:91]
	v_mul_f64 v[52:53], v[8:9], v[48:49]
	v_mul_f64 v[52:53], v[234:235], v[52:53]
	;; [unrolled: 3-line block ×3, first 2 shown]
	v_mul_f64 v[48:49], v[4:5], v[48:49]
	v_mul_f64 v[40:41], v[18:19], v[40:41]
	v_fmac_f64_e32 v[14:15], v[52:53], v[82:83]
	v_mul_f64 v[48:49], v[120:121], v[48:49]
	v_mul_f64 v[40:41], v[22:23], v[40:41]
	v_fmac_f64_e32 v[14:15], v[48:49], v[218:219]
	;; [unrolled: 3-line block ×5, first 2 shown]
	v_mul_f64 v[46:47], v[6:7], v[40:41]
	v_mul_f64 v[46:47], v[230:231], v[46:47]
	;; [unrolled: 1-line block ×3, first 2 shown]
	v_fmac_f64_e32 v[14:15], v[46:47], v[42:43]
	v_mul_f64 v[40:41], v[120:121], v[40:41]
	s_waitcnt lgkmcnt(0)
	v_mul_f64 v[36:37], v[36:37], v[44:45]
	v_fmac_f64_e32 v[14:15], v[40:41], v[214:215]
	v_mul_f64 v[40:41], v[32:33], v[36:37]
	v_mul_f64 v[40:41], v[190:191], v[40:41]
	;; [unrolled: 1-line block ×4, first 2 shown]
	v_fmac_f64_e32 v[14:15], v[38:39], v[42:43]
	v_mul_f64 v[38:39], v[10:11], v[40:41]
	v_mul_f64 v[38:39], v[220:221], v[38:39]
	v_fmac_f64_e32 v[14:15], v[34:35], v[38:39]
	v_mul_f64 v[34:35], v[8:9], v[40:41]
	v_mul_f64 v[34:35], v[234:235], v[34:35]
	;; [unrolled: 3-line block ×3, first 2 shown]
	v_fmac_f64_e32 v[14:15], v[24:25], v[2:3]
	v_mul_f64 v[2:3], v[4:5], v[40:41]
	scratch_load_dwordx4 v[38:41], off, off offset:1656 ; 16-byte Folded Reload
	v_mul_f64 v[2:3], v[120:121], v[2:3]
	v_fmac_f64_e32 v[14:15], v[2:3], v[130:131]
	v_mul_f64 v[2:3], v[30:31], v[36:37]
	v_mul_f64 v[2:3], v[200:201], v[2:3]
	;; [unrolled: 1-line block ×4, first 2 shown]
	v_fmac_f64_e32 v[14:15], v[24:25], v[20:21]
	v_mul_f64 v[20:21], v[10:11], v[2:3]
	v_mul_f64 v[20:21], v[220:221], v[20:21]
	v_fmac_f64_e32 v[14:15], v[20:21], v[16:17]
	v_mul_f64 v[16:17], v[8:9], v[2:3]
	v_mul_f64 v[16:17], v[234:235], v[16:17]
	v_accvgpr_read_b32 v20, a248
	v_accvgpr_read_b32 v21, a249
	;; [unrolled: 1-line block ×10, first 2 shown]
	s_waitcnt vmcnt(0)
	v_fmac_f64_e32 v[14:15], v[16:17], v[38:39]
	scratch_load_dwordx4 v[38:41], off, off offset:1512 ; 16-byte Folded Reload
	v_mul_f64 v[16:17], v[6:7], v[2:3]
	v_mul_f64 v[16:17], v[230:231], v[16:17]
	;; [unrolled: 1-line block ×4, first 2 shown]
	s_waitcnt vmcnt(0)
	v_fmac_f64_e32 v[14:15], v[16:17], v[38:39]
	scratch_load_dwordx4 v[38:41], off, off offset:1528 ; 16-byte Folded Reload
	v_accvgpr_read_b32 v16, a38
	v_accvgpr_read_b32 v17, a39
	v_fmac_f64_e32 v[14:15], v[2:3], v[16:17]
	v_mul_f64 v[2:3], v[28:29], v[36:37]
	v_mul_f64 v[2:3], v[196:197], v[2:3]
	;; [unrolled: 1-line block ×4, first 2 shown]
	s_waitcnt vmcnt(0)
	v_fmac_f64_e32 v[14:15], v[16:17], v[38:39]
	scratch_load_dwordx4 v[38:41], off, off offset:1544 ; 16-byte Folded Reload
	v_mul_f64 v[16:17], v[10:11], v[2:3]
	v_mul_f64 v[16:17], v[220:221], v[16:17]
	s_waitcnt vmcnt(0)
	v_fmac_f64_e32 v[14:15], v[16:17], v[38:39]
	scratch_load_dwordx4 v[38:41], off, off offset:1576 ; 16-byte Folded Reload
	v_mul_f64 v[16:17], v[8:9], v[2:3]
	v_mul_f64 v[16:17], v[234:235], v[16:17]
	;; [unrolled: 5-line block ×3, first 2 shown]
	v_mul_f64 v[2:3], v[4:5], v[2:3]
	v_mul_f64 v[2:3], v[120:121], v[2:3]
	s_waitcnt vmcnt(0)
	v_fmac_f64_e32 v[14:15], v[16:17], v[38:39]
	scratch_load_dwordx4 v[38:41], off, off offset:1688 ; 16-byte Folded Reload
	s_waitcnt vmcnt(0)
	v_fmac_f64_e32 v[14:15], v[2:3], v[38:39]
	scratch_load_dwordx4 v[38:41], off, off offset:1608 ; 16-byte Folded Reload
	v_mul_f64 v[2:3], v[26:27], v[36:37]
	v_mul_f64 v[2:3], v[204:205], v[2:3]
	;; [unrolled: 1-line block ×4, first 2 shown]
	s_waitcnt vmcnt(0)
	v_fmac_f64_e32 v[14:15], v[16:17], v[38:39]
	scratch_load_dwordx4 v[38:41], off, off offset:1624 ; 16-byte Folded Reload
	v_mul_f64 v[16:17], v[10:11], v[2:3]
	v_mul_f64 v[16:17], v[220:221], v[16:17]
	s_waitcnt vmcnt(0)
	v_fmac_f64_e32 v[14:15], v[16:17], v[38:39]
	scratch_load_dwordx4 v[38:41], off, off offset:1736 ; 16-byte Folded Reload
	v_mul_f64 v[16:17], v[8:9], v[2:3]
	v_mul_f64 v[16:17], v[234:235], v[16:17]
	;; [unrolled: 5-line block ×3, first 2 shown]
	v_mul_f64 v[2:3], v[4:5], v[2:3]
	v_mul_f64 v[2:3], v[120:121], v[2:3]
	s_waitcnt vmcnt(0)
	v_fmac_f64_e32 v[14:15], v[16:17], v[38:39]
	v_accvgpr_read_b32 v16, a250
	v_accvgpr_read_b32 v17, a251
	v_fmac_f64_e32 v[14:15], v[2:3], v[16:17]
	v_mul_f64 v[2:3], v[18:19], v[36:37]
	scratch_load_dwordx4 v[34:37], off, off offset:1800 ; 16-byte Folded Reload
	v_mul_f64 v[2:3], v[22:23], v[2:3]
	v_mul_f64 v[16:17], v[12:13], v[2:3]
	v_mul_f64 v[16:17], v[224:225], v[16:17]
	s_waitcnt vmcnt(0)
	v_fmac_f64_e32 v[14:15], v[16:17], v[34:35]
	v_mul_f64 v[16:17], v[10:11], v[2:3]
	v_mul_f64 v[16:17], v[220:221], v[16:17]
	v_fmac_f64_e32 v[14:15], v[16:17], v[20:21]
	v_mul_f64 v[16:17], v[8:9], v[2:3]
	v_accvgpr_read_b32 v20, a244
	v_mul_f64 v[16:17], v[234:235], v[16:17]
	v_accvgpr_read_b32 v21, a245
	v_fmac_f64_e32 v[14:15], v[16:17], v[20:21]
	v_mul_f64 v[16:17], v[6:7], v[2:3]
	v_accvgpr_read_b32 v20, a240
	v_mul_f64 v[16:17], v[230:231], v[16:17]
	v_accvgpr_read_b32 v21, a241
	;; [unrolled: 5-line block ×3, first 2 shown]
	v_fmac_f64_e32 v[14:15], v[2:3], v[16:17]
	ds_read_b64 v[2:3], v126 offset:64
	ds_read_b64 v[16:17], v252 offset:64
	s_waitcnt lgkmcnt(0)
	v_mul_f64 v[2:3], v[2:3], v[16:17]
	v_mul_f64 v[16:17], v[32:33], v[2:3]
	;; [unrolled: 1-line block ×5, first 2 shown]
	v_fmac_f64_e32 v[14:15], v[24:25], v[20:21]
	v_mul_f64 v[20:21], v[10:11], v[16:17]
	v_accvgpr_read_b32 v24, a230
	v_mul_f64 v[20:21], v[220:221], v[20:21]
	v_accvgpr_read_b32 v25, a231
	v_fmac_f64_e32 v[14:15], v[24:25], v[20:21]
	v_mul_f64 v[20:21], v[8:9], v[16:17]
	v_accvgpr_read_b32 v24, a232
	v_mul_f64 v[20:21], v[234:235], v[20:21]
	v_accvgpr_read_b32 v25, a233
	;; [unrolled: 5-line block ×4, first 2 shown]
	v_fmac_f64_e32 v[14:15], v[16:17], v[20:21]
	v_mul_f64 v[16:17], v[30:31], v[2:3]
	v_mul_f64 v[16:17], v[200:201], v[16:17]
	;; [unrolled: 1-line block ×4, first 2 shown]
	v_fmac_f64_e32 v[14:15], v[20:21], v[156:157]
	v_mul_f64 v[20:21], v[10:11], v[16:17]
	v_accvgpr_read_b32 v24, a214
	v_mul_f64 v[20:21], v[220:221], v[20:21]
	v_accvgpr_read_b32 v25, a215
	v_fmac_f64_e32 v[14:15], v[20:21], v[24:25]
	v_mul_f64 v[20:21], v[8:9], v[16:17]
	v_accvgpr_read_b32 v24, a216
	v_mul_f64 v[20:21], v[234:235], v[20:21]
	v_accvgpr_read_b32 v25, a217
	;; [unrolled: 5-line block ×3, first 2 shown]
	v_mul_f64 v[16:17], v[4:5], v[16:17]
	v_fmac_f64_e32 v[14:15], v[20:21], v[24:25]
	v_mul_f64 v[16:17], v[120:121], v[16:17]
	v_fmac_f64_e32 v[14:15], v[16:17], v[152:153]
	v_mul_f64 v[16:17], v[28:29], v[2:3]
	v_mul_f64 v[16:17], v[196:197], v[16:17]
	;; [unrolled: 1-line block ×3, first 2 shown]
	v_accvgpr_read_b32 v24, a208
	v_mul_f64 v[20:21], v[224:225], v[20:21]
	v_accvgpr_read_b32 v25, a209
	v_fmac_f64_e32 v[14:15], v[20:21], v[24:25]
	v_mul_f64 v[20:21], v[10:11], v[16:17]
	v_mul_f64 v[20:21], v[220:221], v[20:21]
	v_fmac_f64_e32 v[14:15], v[20:21], v[150:151]
	v_mul_f64 v[20:21], v[8:9], v[16:17]
	v_accvgpr_read_b32 v24, a190
	v_mul_f64 v[20:21], v[234:235], v[20:21]
	v_accvgpr_read_b32 v25, a191
	v_fmac_f64_e32 v[14:15], v[20:21], v[24:25]
	v_mul_f64 v[20:21], v[6:7], v[16:17]
	v_accvgpr_read_b32 v24, a200
	v_mul_f64 v[20:21], v[230:231], v[20:21]
	v_accvgpr_read_b32 v25, a201
	;; [unrolled: 5-line block ×3, first 2 shown]
	v_fmac_f64_e32 v[14:15], v[16:17], v[20:21]
	v_mul_f64 v[16:17], v[26:27], v[2:3]
	v_mul_f64 v[16:17], v[204:205], v[16:17]
	;; [unrolled: 1-line block ×3, first 2 shown]
	v_accvgpr_read_b32 v24, a196
	v_mul_f64 v[20:21], v[224:225], v[20:21]
	v_accvgpr_read_b32 v25, a197
	v_fmac_f64_e32 v[14:15], v[20:21], v[24:25]
	v_mul_f64 v[20:21], v[10:11], v[16:17]
	v_accvgpr_read_b32 v24, a192
	v_mul_f64 v[20:21], v[220:221], v[20:21]
	v_accvgpr_read_b32 v25, a193
	v_fmac_f64_e32 v[14:15], v[20:21], v[24:25]
	v_mul_f64 v[20:21], v[8:9], v[16:17]
	;; [unrolled: 5-line block ×4, first 2 shown]
	v_accvgpr_read_b32 v20, a30
	v_mul_f64 v[2:3], v[18:19], v[2:3]
	v_mul_f64 v[16:17], v[120:121], v[16:17]
	v_accvgpr_read_b32 v21, a31
	v_mul_f64 v[2:3], v[22:23], v[2:3]
	v_fmac_f64_e32 v[14:15], v[16:17], v[20:21]
	v_mul_f64 v[16:17], v[12:13], v[2:3]
	v_accvgpr_read_b32 v20, a180
	v_mul_f64 v[16:17], v[224:225], v[16:17]
	v_accvgpr_read_b32 v21, a181
	v_fmac_f64_e32 v[14:15], v[16:17], v[20:21]
	v_mul_f64 v[16:17], v[10:11], v[2:3]
	v_accvgpr_read_b32 v20, a176
	v_mul_f64 v[16:17], v[220:221], v[16:17]
	v_accvgpr_read_b32 v21, a177
	;; [unrolled: 5-line block ×5, first 2 shown]
	v_fmac_f64_e32 v[14:15], v[2:3], v[16:17]
	ds_read_b64 v[2:3], v126 offset:96
	ds_read_b64 v[16:17], v252 offset:96
	v_accvgpr_read_b32 v24, a164
	v_accvgpr_read_b32 v25, a165
	s_waitcnt lgkmcnt(0)
	v_mul_f64 v[2:3], v[2:3], v[16:17]
	v_mul_f64 v[16:17], v[32:33], v[2:3]
	;; [unrolled: 1-line block ×5, first 2 shown]
	v_fmac_f64_e32 v[14:15], v[24:25], v[20:21]
	v_mul_f64 v[20:21], v[10:11], v[16:17]
	v_accvgpr_read_b32 v24, a160
	v_mul_f64 v[20:21], v[220:221], v[20:21]
	v_accvgpr_read_b32 v25, a161
	v_fmac_f64_e32 v[14:15], v[24:25], v[20:21]
	v_mul_f64 v[20:21], v[8:9], v[16:17]
	v_accvgpr_read_b32 v24, a156
	v_mul_f64 v[20:21], v[234:235], v[20:21]
	v_accvgpr_read_b32 v25, a157
	v_fmac_f64_e32 v[14:15], v[24:25], v[20:21]
	v_mul_f64 v[20:21], v[6:7], v[16:17]
	v_accvgpr_read_b32 v24, a152
	v_mul_f64 v[20:21], v[230:231], v[20:21]
	v_accvgpr_read_b32 v25, a153
	v_fmac_f64_e32 v[14:15], v[24:25], v[20:21]
	v_mul_f64 v[16:17], v[4:5], v[16:17]
	v_accvgpr_read_b32 v20, a26
	v_mul_f64 v[16:17], v[120:121], v[16:17]
	v_accvgpr_read_b32 v21, a27
	v_fmac_f64_e32 v[14:15], v[16:17], v[20:21]
	v_mul_f64 v[16:17], v[30:31], v[2:3]
	v_mul_f64 v[16:17], v[200:201], v[16:17]
	v_mul_f64 v[20:21], v[12:13], v[16:17]
	v_accvgpr_read_b32 v24, a144
	v_mul_f64 v[20:21], v[224:225], v[20:21]
	v_accvgpr_read_b32 v25, a145
	v_fmac_f64_e32 v[14:15], v[20:21], v[24:25]
	v_mul_f64 v[20:21], v[10:11], v[16:17]
	v_accvgpr_read_b32 v24, a140
	v_mul_f64 v[20:21], v[220:221], v[20:21]
	v_accvgpr_read_b32 v25, a141
	v_fmac_f64_e32 v[14:15], v[20:21], v[24:25]
	v_mul_f64 v[20:21], v[8:9], v[16:17]
	v_accvgpr_read_b32 v24, a136
	v_mul_f64 v[20:21], v[234:235], v[20:21]
	v_accvgpr_read_b32 v25, a137
	v_fmac_f64_e32 v[14:15], v[20:21], v[24:25]
	v_mul_f64 v[20:21], v[6:7], v[16:17]
	v_accvgpr_read_b32 v24, a132
	v_mul_f64 v[20:21], v[230:231], v[20:21]
	v_accvgpr_read_b32 v25, a133
	v_fmac_f64_e32 v[14:15], v[20:21], v[24:25]
	v_mul_f64 v[16:17], v[4:5], v[16:17]
	v_accvgpr_read_b32 v20, a22
	v_mul_f64 v[16:17], v[120:121], v[16:17]
	v_accvgpr_read_b32 v21, a23
	v_fmac_f64_e32 v[14:15], v[16:17], v[20:21]
	v_mul_f64 v[16:17], v[28:29], v[2:3]
	v_mul_f64 v[16:17], v[196:197], v[16:17]
	v_mul_f64 v[20:21], v[12:13], v[16:17]
	v_accvgpr_read_b32 v24, a128
	v_mul_f64 v[20:21], v[224:225], v[20:21]
	v_accvgpr_read_b32 v25, a129
	;; [unrolled: 27-line block ×3, first 2 shown]
	v_fmac_f64_e32 v[14:15], v[20:21], v[24:25]
	v_mul_f64 v[20:21], v[10:11], v[16:17]
	v_accvgpr_read_b32 v24, a108
	v_mul_f64 v[20:21], v[220:221], v[20:21]
	v_accvgpr_read_b32 v25, a109
	v_fmac_f64_e32 v[14:15], v[20:21], v[24:25]
	v_mul_f64 v[20:21], v[8:9], v[16:17]
	v_accvgpr_read_b32 v24, a104
	v_mul_f64 v[20:21], v[234:235], v[20:21]
	v_accvgpr_read_b32 v25, a105
	;; [unrolled: 5-line block ×3, first 2 shown]
	v_fmac_f64_e32 v[14:15], v[20:21], v[24:25]
	v_mul_f64 v[16:17], v[4:5], v[16:17]
	v_accvgpr_read_b32 v21, a15
	v_mul_f64 v[2:3], v[18:19], v[2:3]
	v_mul_f64 v[16:17], v[120:121], v[16:17]
	v_accvgpr_read_b32 v20, a14
	v_mul_f64 v[2:3], v[22:23], v[2:3]
	v_fmac_f64_e32 v[14:15], v[16:17], v[20:21]
	v_mul_f64 v[16:17], v[12:13], v[2:3]
	v_accvgpr_read_b32 v20, a96
	v_mul_f64 v[16:17], v[224:225], v[16:17]
	v_accvgpr_read_b32 v21, a97
	v_fmac_f64_e32 v[14:15], v[16:17], v[20:21]
	v_mul_f64 v[16:17], v[10:11], v[2:3]
	v_accvgpr_read_b32 v20, a92
	v_mul_f64 v[16:17], v[220:221], v[16:17]
	v_accvgpr_read_b32 v21, a93
	;; [unrolled: 5-line block ×5, first 2 shown]
	v_fmac_f64_e32 v[14:15], v[2:3], v[16:17]
	ds_read_b64 v[2:3], v126 offset:128
	ds_read_b64 v[16:17], v252 offset:128
	v_accvgpr_read_b32 v24, a80
	v_accvgpr_read_b32 v25, a81
	s_waitcnt lgkmcnt(0)
	v_mul_f64 v[2:3], v[2:3], v[16:17]
	v_mul_f64 v[16:17], v[32:33], v[2:3]
	;; [unrolled: 1-line block ×5, first 2 shown]
	v_fmac_f64_e32 v[14:15], v[24:25], v[20:21]
	v_mul_f64 v[20:21], v[10:11], v[16:17]
	v_accvgpr_read_b32 v24, a76
	v_mul_f64 v[20:21], v[220:221], v[20:21]
	v_accvgpr_read_b32 v25, a77
	v_fmac_f64_e32 v[14:15], v[24:25], v[20:21]
	v_mul_f64 v[20:21], v[8:9], v[16:17]
	v_accvgpr_read_b32 v24, a72
	v_mul_f64 v[20:21], v[234:235], v[20:21]
	v_accvgpr_read_b32 v25, a73
	v_fmac_f64_e32 v[14:15], v[24:25], v[20:21]
	v_mul_f64 v[20:21], v[6:7], v[16:17]
	v_accvgpr_read_b32 v24, a68
	v_mul_f64 v[20:21], v[230:231], v[20:21]
	v_accvgpr_read_b32 v25, a69
	v_fmac_f64_e32 v[14:15], v[24:25], v[20:21]
	v_mul_f64 v[16:17], v[4:5], v[16:17]
	v_accvgpr_read_b32 v21, a11
	v_mul_f64 v[16:17], v[120:121], v[16:17]
	v_accvgpr_read_b32 v20, a10
	v_fmac_f64_e32 v[14:15], v[16:17], v[20:21]
	v_mul_f64 v[16:17], v[30:31], v[2:3]
	v_mul_f64 v[16:17], v[200:201], v[16:17]
	v_mul_f64 v[20:21], v[12:13], v[16:17]
	v_accvgpr_read_b32 v24, a60
	v_mul_f64 v[20:21], v[224:225], v[20:21]
	v_accvgpr_read_b32 v25, a61
	v_fmac_f64_e32 v[14:15], v[20:21], v[24:25]
	v_mul_f64 v[20:21], v[10:11], v[16:17]
	v_accvgpr_read_b32 v24, a56
	v_mul_f64 v[20:21], v[220:221], v[20:21]
	v_accvgpr_read_b32 v25, a57
	v_fmac_f64_e32 v[14:15], v[20:21], v[24:25]
	v_mul_f64 v[20:21], v[8:9], v[16:17]
	v_accvgpr_read_b32 v24, a52
	v_mul_f64 v[20:21], v[234:235], v[20:21]
	v_accvgpr_read_b32 v25, a53
	v_fmac_f64_e32 v[14:15], v[20:21], v[24:25]
	v_mul_f64 v[20:21], v[6:7], v[16:17]
	v_accvgpr_read_b32 v24, a48
	v_mul_f64 v[20:21], v[230:231], v[20:21]
	v_accvgpr_read_b32 v25, a49
	v_fmac_f64_e32 v[14:15], v[20:21], v[24:25]
	v_mul_f64 v[16:17], v[4:5], v[16:17]
	v_accvgpr_read_b32 v21, a7
	v_mul_f64 v[16:17], v[120:121], v[16:17]
	v_accvgpr_read_b32 v20, a6
	v_fmac_f64_e32 v[14:15], v[16:17], v[20:21]
	v_mul_f64 v[16:17], v[28:29], v[2:3]
	v_mul_f64 v[16:17], v[196:197], v[16:17]
	v_mul_f64 v[20:21], v[12:13], v[16:17]
	v_accvgpr_read_b32 v24, a44
	v_mul_f64 v[20:21], v[224:225], v[20:21]
	v_accvgpr_read_b32 v25, a45
	;; [unrolled: 27-line block ×3, first 2 shown]
	v_fmac_f64_e32 v[14:15], v[20:21], v[24:25]
	v_mul_f64 v[20:21], v[10:11], v[16:17]
	v_accvgpr_read_b32 v24, a24
	v_mul_f64 v[20:21], v[220:221], v[20:21]
	v_accvgpr_read_b32 v25, a25
	v_fmac_f64_e32 v[14:15], v[20:21], v[24:25]
	v_mul_f64 v[20:21], v[8:9], v[16:17]
	v_accvgpr_read_b32 v25, a21
	v_mul_f64 v[20:21], v[234:235], v[20:21]
	v_accvgpr_read_b32 v24, a20
	;; [unrolled: 5-line block ×3, first 2 shown]
	v_mul_f64 v[2:3], v[18:19], v[2:3]
	v_fmac_f64_e32 v[14:15], v[20:21], v[24:25]
	v_mul_f64 v[16:17], v[4:5], v[16:17]
	v_accvgpr_read_b32 v21, a13
	v_mul_f64 v[2:3], v[22:23], v[2:3]
	v_mul_f64 v[16:17], v[120:121], v[16:17]
	v_accvgpr_read_b32 v20, a12
	v_mul_f64 v[12:13], v[12:13], v[2:3]
	v_fmac_f64_e32 v[14:15], v[16:17], v[20:21]
	v_mul_f64 v[12:13], v[224:225], v[12:13]
	v_mul_f64 v[10:11], v[10:11], v[2:3]
	;; [unrolled: 1-line block ×5, first 2 shown]
	ds_read_b64 v[4:5], v127 offset:992
	v_fmac_f64_e32 v[14:15], v[12:13], v[186:187]
	v_mul_f64 v[10:11], v[220:221], v[10:11]
	v_fmac_f64_e32 v[14:15], v[10:11], v[178:179]
	v_mul_f64 v[8:9], v[234:235], v[8:9]
	;; [unrolled: 2-line block ×4, first 2 shown]
	s_waitcnt lgkmcnt(0)
	v_fmac_f64_e32 v[14:15], v[2:3], v[4:5]
	global_store_dwordx2 v[254:255], v[14:15], off offset:2048
	ds_read_b64 v[16:17], v125 offset:128
	ds_read_b64 v[18:19], v127 offset:1160
	;; [unrolled: 1-line block ×3, first 2 shown]
	scratch_load_dwordx4 v[6:9], off, off offset:1096 ; 16-byte Folded Reload
	scratch_load_dwordx4 v[12:15], off, off offset:1464 ; 16-byte Folded Reload
	v_accvgpr_read_b32 v4, a210
	v_accvgpr_read_b32 v5, a211
	v_accvgpr_read_b32 v10, a110
	v_accvgpr_read_b32 v11, a111
	s_waitcnt vmcnt(1)
	v_accvgpr_read_b32 v8, a166
	v_accvgpr_read_b32 v9, a167
	scratch_load_dwordx4 v[24:27], off, off offset:1720 ; 16-byte Folded Reload
	scratch_load_dwordx4 v[26:29], off, off offset:1640 ; 16-byte Folded Reload
	v_mul_f64 v[2:3], v[4:5], v[6:7]
	v_mul_f64 v[4:5], v[10:11], v[2:3]
	;; [unrolled: 1-line block ×5, first 2 shown]
	v_fma_f64 v[22:23], v[8:9], v[6:7], 0
	v_mul_f64 v[6:7], v[180:181], v[4:5]
	v_mul_f64 v[6:7], v[176:177], v[6:7]
	s_waitcnt vmcnt(2)
	v_fmac_f64_e32 v[22:23], v[12:13], v[6:7]
	scratch_load_dwordx4 v[12:15], off, off offset:1192 ; 16-byte Folded Reload
	v_mul_f64 v[6:7], v[172:173], v[4:5]
	v_accvgpr_read_b32 v8, a162
	v_mul_f64 v[6:7], v[168:169], v[6:7]
	v_accvgpr_read_b32 v9, a163
	v_fmac_f64_e32 v[22:23], v[8:9], v[6:7]
	v_mul_f64 v[6:7], v[0:1], v[4:5]
	v_mul_f64 v[6:7], v[164:165], v[6:7]
	s_waitcnt lgkmcnt(2)
	v_mul_f64 v[4:5], v[16:17], v[4:5]
	s_waitcnt lgkmcnt(1)
	v_mul_f64 v[4:5], v[18:19], v[4:5]
	s_waitcnt vmcnt(1)
	v_mov_b64_e32 v[28:29], v[24:25]
	s_waitcnt vmcnt(0)
	v_fmac_f64_e32 v[22:23], v[12:13], v[6:7]
	scratch_load_dwordx4 v[6:9], off, off offset:1256 ; 16-byte Folded Reload
	scratch_load_dwordx4 v[12:15], off, off offset:1224 ; 16-byte Folded Reload
	s_waitcnt vmcnt(1)
	v_accvgpr_read_b32 v8, a130
	v_accvgpr_read_b32 v9, a131
	v_fmac_f64_e32 v[22:23], v[4:5], v[6:7]
	v_mul_f64 v[4:5], v[24:25], v[2:3]
	v_mul_f64 v[4:5], v[176:177], v[4:5]
	;; [unrolled: 1-line block ×4, first 2 shown]
	v_fmac_f64_e32 v[22:23], v[6:7], v[8:9]
	v_mul_f64 v[6:7], v[180:181], v[4:5]
	v_mul_f64 v[6:7], v[176:177], v[6:7]
	s_waitcnt vmcnt(0)
	v_fmac_f64_e32 v[22:23], v[6:7], v[12:13]
	scratch_load_dwordx4 v[12:15], off, off offset:1272 ; 16-byte Folded Reload
	v_mul_f64 v[6:7], v[172:173], v[4:5]
	v_accvgpr_read_b32 v8, a134
	v_mul_f64 v[6:7], v[168:169], v[6:7]
	v_accvgpr_read_b32 v9, a135
	v_fmac_f64_e32 v[22:23], v[6:7], v[8:9]
	v_mul_f64 v[6:7], v[0:1], v[4:5]
	v_mul_f64 v[6:7], v[164:165], v[6:7]
	;; [unrolled: 1-line block ×4, first 2 shown]
	s_waitcnt vmcnt(0)
	v_fmac_f64_e32 v[22:23], v[6:7], v[12:13]
	scratch_load_dwordx4 v[6:9], off, off offset:1304 ; 16-byte Folded Reload
	scratch_load_dwordx4 v[12:15], off, off offset:1288 ; 16-byte Folded Reload
	s_waitcnt vmcnt(1)
	v_accvgpr_read_b32 v8, a138
	v_accvgpr_read_b32 v9, a139
	v_fmac_f64_e32 v[22:23], v[4:5], v[6:7]
	v_mul_f64 v[4:5], v[26:27], v[2:3]
	v_mul_f64 v[4:5], v[168:169], v[4:5]
	;; [unrolled: 1-line block ×4, first 2 shown]
	s_waitcnt vmcnt(0)
	v_fmac_f64_e32 v[22:23], v[6:7], v[12:13]
	scratch_load_dwordx4 v[12:15], off, off offset:1320 ; 16-byte Folded Reload
	v_mul_f64 v[6:7], v[180:181], v[4:5]
	v_mul_f64 v[6:7], v[176:177], v[6:7]
	v_fmac_f64_e32 v[22:23], v[6:7], v[8:9]
	v_mul_f64 v[6:7], v[172:173], v[4:5]
	v_mul_f64 v[6:7], v[168:169], v[6:7]
	v_accvgpr_read_b32 v8, a142
	v_accvgpr_read_b32 v9, a143
	s_waitcnt vmcnt(0)
	v_fmac_f64_e32 v[22:23], v[6:7], v[12:13]
	scratch_load_dwordx4 v[12:15], off, off offset:1336 ; 16-byte Folded Reload
	v_mul_f64 v[6:7], v[0:1], v[4:5]
	v_mul_f64 v[6:7], v[164:165], v[6:7]
	v_fmac_f64_e32 v[22:23], v[6:7], v[8:9]
	v_mul_f64 v[4:5], v[16:17], v[4:5]
	v_accvgpr_read_b32 v6, a146
	v_mul_f64 v[4:5], v[18:19], v[4:5]
	v_accvgpr_read_b32 v7, a147
	v_fmac_f64_e32 v[22:23], v[4:5], v[6:7]
	v_mul_f64 v[4:5], v[208:209], v[2:3]
	v_mul_f64 v[4:5], v[164:165], v[4:5]
	;; [unrolled: 1-line block ×4, first 2 shown]
	s_waitcnt lgkmcnt(0)
	v_mul_f64 v[2:3], v[20:21], v[2:3]
	v_mul_f64 v[2:3], v[18:19], v[2:3]
	s_waitcnt vmcnt(0)
	v_fmac_f64_e32 v[22:23], v[6:7], v[12:13]
	scratch_load_dwordx4 v[12:15], off, off offset:1352 ; 16-byte Folded Reload
	v_mul_f64 v[6:7], v[180:181], v[4:5]
	v_mul_f64 v[6:7], v[176:177], v[6:7]
	s_waitcnt vmcnt(0)
	v_fmac_f64_e32 v[22:23], v[6:7], v[12:13]
	scratch_load_dwordx4 v[12:15], off, off offset:1368 ; 16-byte Folded Reload
	;; [unrolled: 5-line block ×3, first 2 shown]
	v_mul_f64 v[6:7], v[0:1], v[4:5]
	v_mul_f64 v[6:7], v[164:165], v[6:7]
	;; [unrolled: 1-line block ×4, first 2 shown]
	s_waitcnt vmcnt(0)
	v_fmac_f64_e32 v[22:23], v[6:7], v[12:13]
	scratch_load_dwordx4 v[6:9], off, off offset:1416 ; 16-byte Folded Reload
	scratch_load_dwordx4 v[12:15], off, off offset:1112 ; 16-byte Folded Reload
	s_waitcnt vmcnt(1)
	v_fmac_f64_e32 v[22:23], v[4:5], v[6:7]
	v_mul_f64 v[4:5], v[188:189], v[2:3]
	v_accvgpr_read_b32 v6, a150
	v_mul_f64 v[4:5], v[184:185], v[4:5]
	v_accvgpr_read_b32 v7, a151
	v_fmac_f64_e32 v[22:23], v[4:5], v[6:7]
	v_mul_f64 v[4:5], v[180:181], v[2:3]
	v_accvgpr_read_b32 v6, a154
	v_mul_f64 v[4:5], v[176:177], v[4:5]
	v_accvgpr_read_b32 v7, a155
	v_fmac_f64_e32 v[22:23], v[4:5], v[6:7]
	scratch_load_dwordx4 v[6:9], off, off offset:1432 ; 16-byte Folded Reload
	v_mul_f64 v[4:5], v[172:173], v[2:3]
	v_mul_f64 v[4:5], v[168:169], v[4:5]
	s_waitcnt vmcnt(0)
	v_fmac_f64_e32 v[22:23], v[4:5], v[6:7]
	v_mul_f64 v[4:5], v[0:1], v[2:3]
	v_accvgpr_read_b32 v6, a158
	v_mul_f64 v[4:5], v[164:165], v[4:5]
	v_accvgpr_read_b32 v7, a159
	v_fmac_f64_e32 v[22:23], v[4:5], v[6:7]
	scratch_load_dwordx4 v[4:7], off, off offset:1448 ; 16-byte Folded Reload
	scratch_load_dwordx4 v[6:9], off, off offset:1080 ; 16-byte Folded Reload
	v_mul_f64 v[2:3], v[16:17], v[2:3]
	v_mul_f64 v[2:3], v[18:19], v[2:3]
	s_waitcnt vmcnt(0)
	v_accvgpr_read_b32 v8, a118
	v_accvgpr_read_b32 v9, a119
	v_fmac_f64_e32 v[22:23], v[2:3], v[4:5]
	v_accvgpr_read_b32 v4, a194
	v_accvgpr_read_b32 v5, a195
	v_mul_f64 v[2:3], v[6:7], v[4:5]
	v_mul_f64 v[4:5], v[10:11], v[2:3]
	;; [unrolled: 1-line block ×5, first 2 shown]
	v_fmac_f64_e32 v[22:23], v[12:13], v[6:7]
	scratch_load_dwordx4 v[12:15], off, off offset:1128 ; 16-byte Folded Reload
	v_mul_f64 v[6:7], v[180:181], v[4:5]
	v_mul_f64 v[6:7], v[176:177], v[6:7]
	v_fmac_f64_e32 v[22:23], v[8:9], v[6:7]
	v_mul_f64 v[6:7], v[172:173], v[4:5]
	v_mul_f64 v[6:7], v[168:169], v[6:7]
	v_accvgpr_read_b32 v8, a122
	v_accvgpr_read_b32 v9, a123
	s_waitcnt vmcnt(0)
	v_fmac_f64_e32 v[22:23], v[12:13], v[6:7]
	v_mul_f64 v[6:7], v[0:1], v[4:5]
	v_mul_f64 v[6:7], v[164:165], v[6:7]
	v_fmac_f64_e32 v[22:23], v[8:9], v[6:7]
	scratch_load_dwordx4 v[6:9], off, off offset:1176 ; 16-byte Folded Reload
	scratch_load_dwordx4 v[12:15], off, off offset:1144 ; 16-byte Folded Reload
	v_mul_f64 v[4:5], v[16:17], v[4:5]
	v_mul_f64 v[4:5], v[18:19], v[4:5]
	s_waitcnt vmcnt(1)
	v_accvgpr_read_b32 v8, a126
	v_accvgpr_read_b32 v9, a127
	v_fmac_f64_e32 v[22:23], v[4:5], v[6:7]
	v_mul_f64 v[4:5], v[28:29], v[2:3]
	v_mul_f64 v[4:5], v[176:177], v[4:5]
	;; [unrolled: 1-line block ×4, first 2 shown]
	s_waitcnt vmcnt(0)
	v_fmac_f64_e32 v[22:23], v[6:7], v[12:13]
	v_mul_f64 v[6:7], v[180:181], v[4:5]
	v_mul_f64 v[6:7], v[176:177], v[6:7]
	v_fmac_f64_e32 v[22:23], v[6:7], v[8:9]
	v_mul_f64 v[6:7], v[172:173], v[4:5]
	v_accvgpr_read_b32 v8, a74
	v_mul_f64 v[6:7], v[168:169], v[6:7]
	v_accvgpr_read_b32 v9, a75
	v_fmac_f64_e32 v[22:23], v[6:7], v[8:9]
	v_mul_f64 v[6:7], v[0:1], v[4:5]
	v_accvgpr_read_b32 v8, a78
	v_mul_f64 v[6:7], v[164:165], v[6:7]
	v_accvgpr_read_b32 v9, a79
	v_fmac_f64_e32 v[22:23], v[6:7], v[8:9]
	scratch_load_dwordx4 v[6:9], off, off offset:936 ; 16-byte Folded Reload
	scratch_load_dwordx4 v[12:15], off, off offset:920 ; 16-byte Folded Reload
	v_mul_f64 v[4:5], v[16:17], v[4:5]
	v_mul_f64 v[4:5], v[18:19], v[4:5]
	s_waitcnt vmcnt(1)
	v_accvgpr_read_b32 v8, a86
	v_accvgpr_read_b32 v9, a87
	v_fmac_f64_e32 v[22:23], v[4:5], v[6:7]
	v_mul_f64 v[4:5], v[26:27], v[2:3]
	v_mul_f64 v[4:5], v[168:169], v[4:5]
	;; [unrolled: 1-line block ×4, first 2 shown]
	s_waitcnt vmcnt(0)
	v_fmac_f64_e32 v[22:23], v[6:7], v[12:13]
	scratch_load_dwordx4 v[12:15], off, off offset:1240 ; 16-byte Folded Reload
	v_mul_f64 v[6:7], v[180:181], v[4:5]
	v_mul_f64 v[6:7], v[176:177], v[6:7]
	s_waitcnt vmcnt(0)
	v_fmac_f64_e32 v[22:23], v[6:7], v[12:13]
	scratch_load_dwordx4 v[12:15], off, off offset:952 ; 16-byte Folded Reload
	v_mul_f64 v[6:7], v[172:173], v[4:5]
	v_mul_f64 v[6:7], v[168:169], v[6:7]
	v_fmac_f64_e32 v[22:23], v[6:7], v[8:9]
	v_mul_f64 v[6:7], v[0:1], v[4:5]
	v_accvgpr_read_b32 v8, a82
	v_mul_f64 v[6:7], v[164:165], v[6:7]
	v_accvgpr_read_b32 v9, a83
	v_fmac_f64_e32 v[22:23], v[6:7], v[8:9]
	v_mul_f64 v[4:5], v[16:17], v[4:5]
	v_accvgpr_read_b32 v6, a90
	v_mul_f64 v[4:5], v[18:19], v[4:5]
	v_accvgpr_read_b32 v7, a91
	v_fmac_f64_e32 v[22:23], v[4:5], v[6:7]
	v_mul_f64 v[4:5], v[208:209], v[2:3]
	v_mul_f64 v[4:5], v[164:165], v[4:5]
	;; [unrolled: 1-line block ×4, first 2 shown]
	v_accvgpr_read_b32 v8, a94
	v_accvgpr_read_b32 v9, a95
	v_mul_f64 v[2:3], v[20:21], v[2:3]
	v_mul_f64 v[2:3], v[18:19], v[2:3]
	s_waitcnt vmcnt(0)
	v_fmac_f64_e32 v[22:23], v[6:7], v[12:13]
	scratch_load_dwordx4 v[12:15], off, off offset:968 ; 16-byte Folded Reload
	v_mul_f64 v[6:7], v[180:181], v[4:5]
	v_mul_f64 v[6:7], v[176:177], v[6:7]
	s_waitcnt vmcnt(0)
	v_fmac_f64_e32 v[22:23], v[6:7], v[12:13]
	scratch_load_dwordx4 v[12:15], off, off offset:984 ; 16-byte Folded Reload
	v_mul_f64 v[6:7], v[172:173], v[4:5]
	v_mul_f64 v[6:7], v[168:169], v[6:7]
	v_fmac_f64_e32 v[22:23], v[6:7], v[8:9]
	v_mul_f64 v[6:7], v[0:1], v[4:5]
	v_mul_f64 v[6:7], v[164:165], v[6:7]
	;; [unrolled: 1-line block ×4, first 2 shown]
	s_waitcnt vmcnt(0)
	v_fmac_f64_e32 v[22:23], v[6:7], v[12:13]
	scratch_load_dwordx4 v[6:9], off, off offset:1032 ; 16-byte Folded Reload
	scratch_load_dwordx4 v[12:15], off, off offset:544 ; 16-byte Folded Reload
	s_waitcnt vmcnt(1)
	v_fmac_f64_e32 v[22:23], v[4:5], v[6:7]
	v_mul_f64 v[4:5], v[188:189], v[2:3]
	v_accvgpr_read_b32 v6, a98
	v_mul_f64 v[4:5], v[184:185], v[4:5]
	v_accvgpr_read_b32 v7, a99
	v_fmac_f64_e32 v[22:23], v[4:5], v[6:7]
	v_mul_f64 v[4:5], v[180:181], v[2:3]
	v_accvgpr_read_b32 v6, a102
	v_mul_f64 v[4:5], v[176:177], v[4:5]
	v_accvgpr_read_b32 v7, a103
	v_fmac_f64_e32 v[22:23], v[4:5], v[6:7]
	scratch_load_dwordx4 v[6:9], off, off offset:1048 ; 16-byte Folded Reload
	v_mul_f64 v[4:5], v[172:173], v[2:3]
	v_mul_f64 v[4:5], v[168:169], v[4:5]
	s_waitcnt vmcnt(0)
	v_accvgpr_read_b32 v8, a252
	v_accvgpr_read_b32 v9, a253
	v_fmac_f64_e32 v[22:23], v[4:5], v[6:7]
	v_mul_f64 v[4:5], v[0:1], v[2:3]
	v_accvgpr_read_b32 v6, a106
	v_mul_f64 v[4:5], v[164:165], v[4:5]
	v_accvgpr_read_b32 v7, a107
	v_fmac_f64_e32 v[22:23], v[4:5], v[6:7]
	scratch_load_dwordx4 v[4:7], off, off offset:1784 ; 16-byte Folded Reload
	v_mul_f64 v[2:3], v[16:17], v[2:3]
	v_mul_f64 v[2:3], v[18:19], v[2:3]
	s_waitcnt vmcnt(0)
	v_fmac_f64_e32 v[22:23], v[2:3], v[4:5]
	v_accvgpr_read_b32 v2, a182
	v_accvgpr_read_b32 v4, a178
	;; [unrolled: 1-line block ×4, first 2 shown]
	v_mul_f64 v[2:3], v[2:3], v[4:5]
	v_mul_f64 v[4:5], v[10:11], v[2:3]
	;; [unrolled: 1-line block ×5, first 2 shown]
	v_fmac_f64_e32 v[22:23], v[8:9], v[6:7]
	v_mul_f64 v[6:7], v[180:181], v[4:5]
	v_mul_f64 v[6:7], v[176:177], v[6:7]
	v_fmac_f64_e32 v[22:23], v[12:13], v[6:7]
	scratch_load_dwordx4 v[12:15], off, off offset:1496 ; 16-byte Folded Reload
	v_mul_f64 v[6:7], v[172:173], v[4:5]
	v_mul_f64 v[6:7], v[168:169], v[6:7]
	s_waitcnt vmcnt(0)
	v_fmac_f64_e32 v[22:23], v[12:13], v[6:7]
	scratch_load_dwordx4 v[12:15], off, off offset:560 ; 16-byte Folded Reload
	v_mul_f64 v[6:7], v[0:1], v[4:5]
	v_mul_f64 v[6:7], v[164:165], v[6:7]
	;; [unrolled: 1-line block ×4, first 2 shown]
	s_waitcnt vmcnt(0)
	v_fmac_f64_e32 v[22:23], v[12:13], v[6:7]
	scratch_load_dwordx4 v[6:9], off, off offset:760 ; 16-byte Folded Reload
	scratch_load_dwordx4 v[12:15], off, off offset:1160 ; 16-byte Folded Reload
	s_waitcnt vmcnt(1)
	v_accvgpr_read_b32 v8, a46
	v_accvgpr_read_b32 v9, a47
	v_fmac_f64_e32 v[22:23], v[4:5], v[6:7]
	v_mul_f64 v[4:5], v[28:29], v[2:3]
	v_mul_f64 v[4:5], v[176:177], v[4:5]
	;; [unrolled: 1-line block ×4, first 2 shown]
	s_waitcnt vmcnt(0)
	v_fmac_f64_e32 v[22:23], v[6:7], v[12:13]
	scratch_load_dwordx4 v[12:15], off, off offset:1064 ; 16-byte Folded Reload
	v_mul_f64 v[6:7], v[180:181], v[4:5]
	v_mul_f64 v[6:7], v[176:177], v[6:7]
	s_waitcnt vmcnt(0)
	v_fmac_f64_e32 v[22:23], v[6:7], v[12:13]
	scratch_load_dwordx4 v[12:15], off, off offset:776 ; 16-byte Folded Reload
	v_mul_f64 v[6:7], v[172:173], v[4:5]
	v_mul_f64 v[6:7], v[168:169], v[6:7]
	;; [unrolled: 5-line block ×3, first 2 shown]
	v_mul_f64 v[4:5], v[16:17], v[4:5]
	v_mul_f64 v[4:5], v[18:19], v[4:5]
	s_waitcnt vmcnt(0)
	v_fmac_f64_e32 v[22:23], v[6:7], v[12:13]
	scratch_load_dwordx4 v[12:15], off, off offset:792 ; 16-byte Folded Reload
	v_accvgpr_read_b32 v6, a42
	v_accvgpr_read_b32 v7, a43
	v_fmac_f64_e32 v[22:23], v[4:5], v[6:7]
	v_mul_f64 v[4:5], v[26:27], v[2:3]
	v_mul_f64 v[4:5], v[168:169], v[4:5]
	;; [unrolled: 1-line block ×4, first 2 shown]
	s_waitcnt vmcnt(0)
	v_fmac_f64_e32 v[22:23], v[6:7], v[12:13]
	scratch_load_dwordx4 v[12:15], off, off offset:808 ; 16-byte Folded Reload
	v_mul_f64 v[6:7], v[180:181], v[4:5]
	v_mul_f64 v[6:7], v[176:177], v[6:7]
	s_waitcnt vmcnt(0)
	v_fmac_f64_e32 v[22:23], v[6:7], v[12:13]
	scratch_load_dwordx4 v[12:15], off, off offset:824 ; 16-byte Folded Reload
	v_mul_f64 v[6:7], v[172:173], v[4:5]
	v_mul_f64 v[6:7], v[168:169], v[6:7]
	v_fmac_f64_e32 v[22:23], v[6:7], v[8:9]
	v_mul_f64 v[6:7], v[0:1], v[4:5]
	v_mul_f64 v[6:7], v[164:165], v[6:7]
	;; [unrolled: 1-line block ×4, first 2 shown]
	s_waitcnt vmcnt(0)
	v_fmac_f64_e32 v[22:23], v[6:7], v[12:13]
	scratch_load_dwordx4 v[6:9], off, off offset:1208 ; 16-byte Folded Reload
	scratch_load_dwordx4 v[12:15], off, off offset:840 ; 16-byte Folded Reload
	s_waitcnt vmcnt(1)
	v_accvgpr_read_b32 v8, a54
	v_accvgpr_read_b32 v9, a55
	v_fmac_f64_e32 v[22:23], v[4:5], v[6:7]
	v_mul_f64 v[4:5], v[208:209], v[2:3]
	v_mul_f64 v[4:5], v[164:165], v[4:5]
	v_mul_f64 v[6:7], v[188:189], v[4:5]
	v_mul_f64 v[6:7], v[184:185], v[6:7]
	v_fmac_f64_e32 v[22:23], v[6:7], v[8:9]
	v_mul_f64 v[6:7], v[180:181], v[4:5]
	v_mul_f64 v[6:7], v[176:177], v[6:7]
	s_waitcnt vmcnt(0)
	v_fmac_f64_e32 v[22:23], v[6:7], v[12:13]
	scratch_load_dwordx4 v[12:15], off, off offset:856 ; 16-byte Folded Reload
	v_mul_f64 v[6:7], v[172:173], v[4:5]
	v_mul_f64 v[6:7], v[168:169], v[6:7]
	v_accvgpr_read_b32 v8, a58
	v_accvgpr_read_b32 v9, a59
	v_mul_f64 v[2:3], v[20:21], v[2:3]
	v_mul_f64 v[2:3], v[18:19], v[2:3]
	s_waitcnt vmcnt(0)
	v_fmac_f64_e32 v[22:23], v[6:7], v[12:13]
	v_mul_f64 v[6:7], v[0:1], v[4:5]
	v_mul_f64 v[6:7], v[164:165], v[6:7]
	v_fmac_f64_e32 v[22:23], v[6:7], v[8:9]
	v_mul_f64 v[4:5], v[16:17], v[4:5]
	v_accvgpr_read_b32 v6, a62
	v_mul_f64 v[4:5], v[18:19], v[4:5]
	v_accvgpr_read_b32 v7, a63
	v_fmac_f64_e32 v[22:23], v[4:5], v[6:7]
	scratch_load_dwordx4 v[6:9], off, off offset:872 ; 16-byte Folded Reload
	v_mul_f64 v[4:5], v[188:189], v[2:3]
	v_mul_f64 v[4:5], v[184:185], v[4:5]
	s_waitcnt vmcnt(0)
	v_fmac_f64_e32 v[22:23], v[4:5], v[6:7]
	scratch_load_dwordx4 v[6:9], off, off offset:888 ; 16-byte Folded Reload
	v_mul_f64 v[4:5], v[180:181], v[2:3]
	v_mul_f64 v[4:5], v[176:177], v[4:5]
	s_waitcnt vmcnt(0)
	v_fmac_f64_e32 v[22:23], v[4:5], v[6:7]
	v_mul_f64 v[4:5], v[172:173], v[2:3]
	v_accvgpr_read_b32 v6, a66
	v_mul_f64 v[4:5], v[168:169], v[4:5]
	v_accvgpr_read_b32 v7, a67
	v_fmac_f64_e32 v[22:23], v[4:5], v[6:7]
	scratch_load_dwordx4 v[6:9], off, off offset:904 ; 16-byte Folded Reload
	v_mul_f64 v[4:5], v[0:1], v[2:3]
	v_mul_f64 v[4:5], v[164:165], v[4:5]
	v_mul_f64 v[2:3], v[16:17], v[2:3]
	v_mul_f64 v[2:3], v[18:19], v[2:3]
	s_waitcnt vmcnt(0)
	v_fmac_f64_e32 v[22:23], v[4:5], v[6:7]
	scratch_load_dwordx4 v[6:9], off, off offset:528 ; 16-byte Folded Reload
	v_accvgpr_read_b32 v4, a70
	v_accvgpr_read_b32 v5, a71
	v_fmac_f64_e32 v[22:23], v[2:3], v[4:5]
	v_accvgpr_read_b32 v4, a226
	v_accvgpr_read_b32 v5, a227
	s_waitcnt vmcnt(0)
	v_mul_f64 v[24:25], v[6:7], v[4:5]
	scratch_load_dwordx4 v[6:9], off, off offset:512 ; 16-byte Folded Reload
	v_mul_f64 v[2:3], v[10:11], v[24:25]
	v_mul_f64 v[2:3], v[184:185], v[2:3]
	;; [unrolled: 1-line block ×4, first 2 shown]
	s_waitcnt vmcnt(0)
	v_fmac_f64_e32 v[22:23], v[6:7], v[4:5]
	scratch_load_dwordx4 v[6:9], off, off offset:496 ; 16-byte Folded Reload
	v_mul_f64 v[4:5], v[180:181], v[2:3]
	v_mul_f64 v[4:5], v[176:177], v[4:5]
	s_waitcnt vmcnt(0)
	v_fmac_f64_e32 v[22:23], v[6:7], v[4:5]
	scratch_load_dwordx4 v[6:9], off, off offset:480 ; 16-byte Folded Reload
	v_mul_f64 v[4:5], v[172:173], v[2:3]
	v_mul_f64 v[4:5], v[168:169], v[4:5]
	;; [unrolled: 5-line block ×3, first 2 shown]
	v_mul_f64 v[2:3], v[16:17], v[2:3]
	v_mul_f64 v[2:3], v[18:19], v[2:3]
	s_waitcnt vmcnt(0)
	v_fmac_f64_e32 v[22:23], v[6:7], v[4:5]
	scratch_load_dwordx4 v[4:7], off, off offset:448 ; 16-byte Folded Reload
	scratch_load_dwordx4 v[6:9], off, off offset:432 ; 16-byte Folded Reload
	s_waitcnt vmcnt(1)
	v_fmac_f64_e32 v[22:23], v[2:3], v[4:5]
	v_mul_f64 v[2:3], v[28:29], v[24:25]
	v_mul_f64 v[2:3], v[176:177], v[2:3]
	;; [unrolled: 1-line block ×4, first 2 shown]
	s_waitcnt vmcnt(0)
	v_fmac_f64_e32 v[22:23], v[4:5], v[6:7]
	v_mul_f64 v[4:5], v[180:181], v[2:3]
	v_accvgpr_read_b32 v6, a238
	v_mul_f64 v[4:5], v[176:177], v[4:5]
	v_accvgpr_read_b32 v7, a239
	v_fmac_f64_e32 v[22:23], v[4:5], v[6:7]
	scratch_load_dwordx4 v[6:9], off, off offset:416 ; 16-byte Folded Reload
	v_mul_f64 v[4:5], v[172:173], v[2:3]
	v_mul_f64 v[4:5], v[168:169], v[4:5]
	s_waitcnt vmcnt(0)
	v_fmac_f64_e32 v[22:23], v[4:5], v[6:7]
	v_mul_f64 v[4:5], v[0:1], v[2:3]
	v_accvgpr_read_b32 v6, a234
	v_mul_f64 v[4:5], v[164:165], v[4:5]
	v_accvgpr_read_b32 v7, a235
	v_fmac_f64_e32 v[22:23], v[4:5], v[6:7]
	scratch_load_dwordx4 v[4:7], off, off offset:400 ; 16-byte Folded Reload
	scratch_load_dwordx4 v[6:9], off, off offset:1752 ; 16-byte Folded Reload
	v_mul_f64 v[2:3], v[16:17], v[2:3]
	v_mul_f64 v[2:3], v[18:19], v[2:3]
	s_waitcnt vmcnt(1)
	v_fmac_f64_e32 v[22:23], v[2:3], v[4:5]
	v_mul_f64 v[2:3], v[26:27], v[24:25]
	v_mul_f64 v[2:3], v[168:169], v[2:3]
	v_mul_f64 v[4:5], v[188:189], v[2:3]
	v_mul_f64 v[4:5], v[184:185], v[4:5]
	s_waitcnt vmcnt(0)
	v_fmac_f64_e32 v[22:23], v[4:5], v[6:7]
	scratch_load_dwordx4 v[6:9], off, off offset:384 ; 16-byte Folded Reload
	v_mul_f64 v[4:5], v[180:181], v[2:3]
	v_mul_f64 v[4:5], v[176:177], v[4:5]
	s_waitcnt vmcnt(0)
	v_fmac_f64_e32 v[22:23], v[4:5], v[6:7]
	scratch_load_dwordx4 v[6:9], off, off offset:1704 ; 16-byte Folded Reload
	v_mul_f64 v[4:5], v[172:173], v[2:3]
	v_mul_f64 v[4:5], v[168:169], v[4:5]
	;; [unrolled: 5-line block ×3, first 2 shown]
	v_mul_f64 v[2:3], v[16:17], v[2:3]
	v_mul_f64 v[2:3], v[18:19], v[2:3]
	s_waitcnt vmcnt(0)
	v_fmac_f64_e32 v[22:23], v[4:5], v[6:7]
	scratch_load_dwordx4 v[4:7], off, off offset:1672 ; 16-byte Folded Reload
	scratch_load_dwordx4 v[6:9], off, off offset:352 ; 16-byte Folded Reload
	s_waitcnt vmcnt(1)
	v_fmac_f64_e32 v[22:23], v[2:3], v[4:5]
	v_mul_f64 v[2:3], v[208:209], v[24:25]
	v_mul_f64 v[2:3], v[164:165], v[2:3]
	;; [unrolled: 1-line block ×4, first 2 shown]
	s_waitcnt vmcnt(0)
	v_fmac_f64_e32 v[22:23], v[4:5], v[6:7]
	scratch_load_dwordx4 v[6:9], off, off offset:336 ; 16-byte Folded Reload
	v_mul_f64 v[4:5], v[180:181], v[2:3]
	v_mul_f64 v[4:5], v[176:177], v[4:5]
	s_waitcnt vmcnt(0)
	v_fmac_f64_e32 v[22:23], v[4:5], v[6:7]
	scratch_load_dwordx4 v[6:9], off, off offset:320 ; 16-byte Folded Reload
	v_mul_f64 v[4:5], v[172:173], v[2:3]
	v_mul_f64 v[4:5], v[168:169], v[4:5]
	;; [unrolled: 5-line block ×3, first 2 shown]
	v_mul_f64 v[2:3], v[16:17], v[2:3]
	v_mul_f64 v[2:3], v[18:19], v[2:3]
	s_waitcnt vmcnt(0)
	v_fmac_f64_e32 v[22:23], v[4:5], v[6:7]
	scratch_load_dwordx4 v[4:7], off, off offset:1560 ; 16-byte Folded Reload
	scratch_load_dwordx4 v[6:9], off, off offset:288 ; 16-byte Folded Reload
	s_waitcnt vmcnt(1)
	v_fmac_f64_e32 v[22:23], v[2:3], v[4:5]
	v_mul_f64 v[2:3], v[20:21], v[24:25]
	v_mul_f64 v[2:3], v[18:19], v[2:3]
	;; [unrolled: 1-line block ×4, first 2 shown]
	s_waitcnt vmcnt(0)
	v_fmac_f64_e32 v[22:23], v[4:5], v[6:7]
	scratch_load_dwordx4 v[6:9], off, off offset:1480 ; 16-byte Folded Reload
	v_mul_f64 v[4:5], v[180:181], v[2:3]
	v_mul_f64 v[4:5], v[176:177], v[4:5]
	s_waitcnt vmcnt(0)
	v_fmac_f64_e32 v[22:23], v[4:5], v[6:7]
	scratch_load_dwordx4 v[6:9], off, off offset:272 ; 16-byte Folded Reload
	v_mul_f64 v[4:5], v[172:173], v[2:3]
	v_mul_f64 v[4:5], v[168:169], v[4:5]
	;; [unrolled: 5-line block ×3, first 2 shown]
	v_mul_f64 v[2:3], v[16:17], v[2:3]
	v_mul_f64 v[2:3], v[18:19], v[2:3]
	s_waitcnt vmcnt(0)
	v_fmac_f64_e32 v[22:23], v[4:5], v[6:7]
	scratch_load_dwordx4 v[4:7], off, off offset:256 ; 16-byte Folded Reload
	s_waitcnt vmcnt(0)
	v_fmac_f64_e32 v[22:23], v[2:3], v[4:5]
	ds_read_b64 v[2:3], v126 offset:128
	ds_read_b64 v[4:5], v252 offset:128
	s_waitcnt lgkmcnt(0)
	v_mul_f64 v[2:3], v[2:3], v[4:5]
	v_mul_f64 v[4:5], v[10:11], v[2:3]
	scratch_load_dwordx4 v[8:11], off, off offset:1868 ; 16-byte Folded Reload
	v_mul_f64 v[4:5], v[184:185], v[4:5]
	v_mul_f64 v[6:7], v[188:189], v[4:5]
	;; [unrolled: 1-line block ×3, first 2 shown]
	s_waitcnt vmcnt(0)
	v_fmac_f64_e32 v[22:23], v[8:9], v[6:7]
	scratch_load_dwordx4 v[8:11], off, off offset:240 ; 16-byte Folded Reload
	v_mul_f64 v[6:7], v[180:181], v[4:5]
	v_mul_f64 v[6:7], v[176:177], v[6:7]
	s_waitcnt vmcnt(0)
	v_fmac_f64_e32 v[22:23], v[8:9], v[6:7]
	v_mul_f64 v[6:7], v[172:173], v[4:5]
	v_accvgpr_read_b32 v8, a218
	v_mul_f64 v[6:7], v[168:169], v[6:7]
	v_accvgpr_read_b32 v9, a219
	v_fmac_f64_e32 v[22:23], v[8:9], v[6:7]
	scratch_load_dwordx4 v[8:11], off, off offset:224 ; 16-byte Folded Reload
	v_mul_f64 v[6:7], v[0:1], v[4:5]
	v_mul_f64 v[6:7], v[164:165], v[6:7]
	;; [unrolled: 1-line block ×4, first 2 shown]
	s_waitcnt vmcnt(0)
	v_fmac_f64_e32 v[22:23], v[8:9], v[6:7]
	scratch_load_dwordx4 v[8:11], off, off offset:208 ; 16-byte Folded Reload
	v_accvgpr_read_b32 v6, a186
	v_accvgpr_read_b32 v7, a187
	v_fmac_f64_e32 v[22:23], v[4:5], v[6:7]
	v_mul_f64 v[4:5], v[28:29], v[2:3]
	v_mul_f64 v[4:5], v[176:177], v[4:5]
	;; [unrolled: 1-line block ×4, first 2 shown]
	s_waitcnt vmcnt(0)
	v_fmac_f64_e32 v[22:23], v[6:7], v[8:9]
	v_mul_f64 v[6:7], v[180:181], v[4:5]
	v_accvgpr_read_b32 v8, a206
	v_mul_f64 v[6:7], v[176:177], v[6:7]
	v_accvgpr_read_b32 v9, a207
	v_fmac_f64_e32 v[22:23], v[6:7], v[8:9]
	scratch_load_dwordx4 v[8:11], off, off offset:176 ; 16-byte Folded Reload
	v_mul_f64 v[6:7], v[172:173], v[4:5]
	v_mul_f64 v[6:7], v[168:169], v[6:7]
	s_waitcnt vmcnt(0)
	v_fmac_f64_e32 v[22:23], v[6:7], v[8:9]
	scratch_load_dwordx4 v[8:11], off, off offset:160 ; 16-byte Folded Reload
	v_mul_f64 v[6:7], v[0:1], v[4:5]
	v_mul_f64 v[6:7], v[164:165], v[6:7]
	;; [unrolled: 1-line block ×4, first 2 shown]
	s_waitcnt vmcnt(0)
	v_fmac_f64_e32 v[22:23], v[6:7], v[8:9]
	scratch_load_dwordx4 v[8:11], off, off offset:144 ; 16-byte Folded Reload
	v_accvgpr_read_b32 v6, a198
	v_accvgpr_read_b32 v7, a199
	v_fmac_f64_e32 v[22:23], v[4:5], v[6:7]
	v_mul_f64 v[4:5], v[26:27], v[2:3]
	v_mul_f64 v[4:5], v[168:169], v[4:5]
	;; [unrolled: 1-line block ×4, first 2 shown]
	s_waitcnt vmcnt(0)
	v_fmac_f64_e32 v[22:23], v[6:7], v[8:9]
	scratch_load_dwordx4 v[8:11], off, off offset:1016 ; 16-byte Folded Reload
	v_mul_f64 v[6:7], v[180:181], v[4:5]
	v_mul_f64 v[6:7], v[176:177], v[6:7]
	s_waitcnt vmcnt(0)
	v_fmac_f64_e32 v[22:23], v[6:7], v[8:9]
	v_mul_f64 v[6:7], v[172:173], v[4:5]
	v_accvgpr_read_b32 v8, a174
	v_mul_f64 v[6:7], v[168:169], v[6:7]
	v_accvgpr_read_b32 v9, a175
	v_fmac_f64_e32 v[22:23], v[6:7], v[8:9]
	scratch_load_dwordx4 v[8:11], off, off offset:112 ; 16-byte Folded Reload
	v_mul_f64 v[6:7], v[0:1], v[4:5]
	v_mul_f64 v[6:7], v[164:165], v[6:7]
	;; [unrolled: 1-line block ×4, first 2 shown]
	s_waitcnt vmcnt(0)
	v_fmac_f64_e32 v[22:23], v[6:7], v[8:9]
	v_accvgpr_read_b32 v6, a242
	v_accvgpr_read_b32 v7, a243
	v_fmac_f64_e32 v[22:23], v[4:5], v[6:7]
	v_mul_f64 v[4:5], v[208:209], v[2:3]
	v_mul_f64 v[4:5], v[164:165], v[4:5]
	;; [unrolled: 1-line block ×3, first 2 shown]
	v_accvgpr_read_b32 v8, a170
	v_mul_f64 v[6:7], v[184:185], v[6:7]
	v_accvgpr_read_b32 v9, a171
	v_fmac_f64_e32 v[22:23], v[6:7], v[8:9]
	v_mul_f64 v[6:7], v[180:181], v[4:5]
	v_mul_f64 v[6:7], v[176:177], v[6:7]
	v_fmac_f64_e32 v[22:23], v[6:7], v[194:195]
	v_mul_f64 v[6:7], v[172:173], v[4:5]
	v_accvgpr_read_b32 v8, a114
	v_mul_f64 v[6:7], v[168:169], v[6:7]
	v_accvgpr_read_b32 v9, a115
	v_fmac_f64_e32 v[22:23], v[6:7], v[8:9]
	scratch_load_dwordx4 v[8:11], off, off offset:192 ; 16-byte Folded Reload
	v_mul_f64 v[6:7], v[0:1], v[4:5]
	v_mul_f64 v[6:7], v[164:165], v[6:7]
	;; [unrolled: 1-line block ×8, first 2 shown]
	s_waitcnt vmcnt(0)
	v_fmac_f64_e32 v[22:23], v[6:7], v[8:9]
	scratch_load_dwordx4 v[6:9], off, off offset:96 ; 16-byte Folded Reload
	s_waitcnt vmcnt(0)
	v_fmac_f64_e32 v[22:23], v[4:5], v[6:7]
	v_mul_f64 v[4:5], v[188:189], v[2:3]
	v_accvgpr_read_b32 v6, a246
	v_mul_f64 v[4:5], v[184:185], v[4:5]
	v_accvgpr_read_b32 v7, a247
	v_fmac_f64_e32 v[22:23], v[4:5], v[6:7]
	v_mul_f64 v[4:5], v[180:181], v[2:3]
	v_mul_f64 v[4:5], v[176:177], v[4:5]
	v_fmac_f64_e32 v[22:23], v[4:5], v[158:159]
	v_mul_f64 v[4:5], v[172:173], v[2:3]
	v_mul_f64 v[4:5], v[168:169], v[4:5]
	v_fmac_f64_e32 v[22:23], v[4:5], v[58:59]
	scratch_load_dwordx4 v[4:7], off, off offset:128 ; 16-byte Folded Reload
	s_waitcnt vmcnt(0)
	v_fmac_f64_e32 v[22:23], v[0:1], v[4:5]
	v_mul_f64 v[0:1], v[16:17], v[2:3]
	v_mul_f64 v[0:1], v[18:19], v[0:1]
	v_fmac_f64_e32 v[22:23], v[0:1], v[160:161]
	global_store_dwordx2 v[128:129], v[22:23], off offset:2048
	s_cbranch_scc1 .LBB1_24
.LBB1_25:
	s_endpgm
	.section	.rodata,"a",@progbits
	.p2align	6, 0x0
	.amdhsa_kernel _ZN4RAJA34launch_new_reduce_global_fcn_fixedIZN8rajaperf4apps8MASS3DEA17runHipVariantImplILm64ELm0EEEvNS1_9VariantIDEEUlNS_14LaunchContextTINS_3hip33LaunchContextIndicesAndDimsPolicyINS7_14IndicesAndDimsILb0ELb0ELb0ELb0EEEEEEEE_Li64ENS_4expt15ForallParamPackIJEEEEEvT_T1_
		.amdhsa_group_segment_fixed_size 1168
		.amdhsa_private_segment_fixed_size 3220
		.amdhsa_kernarg_size 36
		.amdhsa_user_sgpr_count 2
		.amdhsa_user_sgpr_dispatch_ptr 0
		.amdhsa_user_sgpr_queue_ptr 0
		.amdhsa_user_sgpr_kernarg_segment_ptr 1
		.amdhsa_user_sgpr_dispatch_id 0
		.amdhsa_user_sgpr_kernarg_preload_length 0
		.amdhsa_user_sgpr_kernarg_preload_offset 0
		.amdhsa_user_sgpr_private_segment_size 0
		.amdhsa_uses_dynamic_stack 0
		.amdhsa_enable_private_segment 1
		.amdhsa_system_sgpr_workgroup_id_x 1
		.amdhsa_system_sgpr_workgroup_id_y 0
		.amdhsa_system_sgpr_workgroup_id_z 0
		.amdhsa_system_sgpr_workgroup_info 0
		.amdhsa_system_vgpr_workitem_id 2
		.amdhsa_next_free_vgpr 512
		.amdhsa_next_free_sgpr 19
		.amdhsa_accum_offset 256
		.amdhsa_reserve_vcc 1
		.amdhsa_float_round_mode_32 0
		.amdhsa_float_round_mode_16_64 0
		.amdhsa_float_denorm_mode_32 3
		.amdhsa_float_denorm_mode_16_64 3
		.amdhsa_dx10_clamp 1
		.amdhsa_ieee_mode 1
		.amdhsa_fp16_overflow 0
		.amdhsa_tg_split 0
		.amdhsa_exception_fp_ieee_invalid_op 0
		.amdhsa_exception_fp_denorm_src 0
		.amdhsa_exception_fp_ieee_div_zero 0
		.amdhsa_exception_fp_ieee_overflow 0
		.amdhsa_exception_fp_ieee_underflow 0
		.amdhsa_exception_fp_ieee_inexact 0
		.amdhsa_exception_int_div_zero 0
	.end_amdhsa_kernel
	.section	.text._ZN4RAJA34launch_new_reduce_global_fcn_fixedIZN8rajaperf4apps8MASS3DEA17runHipVariantImplILm64ELm0EEEvNS1_9VariantIDEEUlNS_14LaunchContextTINS_3hip33LaunchContextIndicesAndDimsPolicyINS7_14IndicesAndDimsILb0ELb0ELb0ELb0EEEEEEEE_Li64ENS_4expt15ForallParamPackIJEEEEEvT_T1_,"axG",@progbits,_ZN4RAJA34launch_new_reduce_global_fcn_fixedIZN8rajaperf4apps8MASS3DEA17runHipVariantImplILm64ELm0EEEvNS1_9VariantIDEEUlNS_14LaunchContextTINS_3hip33LaunchContextIndicesAndDimsPolicyINS7_14IndicesAndDimsILb0ELb0ELb0ELb0EEEEEEEE_Li64ENS_4expt15ForallParamPackIJEEEEEvT_T1_,comdat
.Lfunc_end1:
	.size	_ZN4RAJA34launch_new_reduce_global_fcn_fixedIZN8rajaperf4apps8MASS3DEA17runHipVariantImplILm64ELm0EEEvNS1_9VariantIDEEUlNS_14LaunchContextTINS_3hip33LaunchContextIndicesAndDimsPolicyINS7_14IndicesAndDimsILb0ELb0ELb0ELb0EEEEEEEE_Li64ENS_4expt15ForallParamPackIJEEEEEvT_T1_, .Lfunc_end1-_ZN4RAJA34launch_new_reduce_global_fcn_fixedIZN8rajaperf4apps8MASS3DEA17runHipVariantImplILm64ELm0EEEvNS1_9VariantIDEEUlNS_14LaunchContextTINS_3hip33LaunchContextIndicesAndDimsPolicyINS7_14IndicesAndDimsILb0ELb0ELb0ELb0EEEEEEEE_Li64ENS_4expt15ForallParamPackIJEEEEEvT_T1_
                                        ; -- End function
	.section	.AMDGPU.csdata,"",@progbits
; Kernel info:
; codeLenInByte = 83496
; NumSgprs: 25
; NumVgprs: 256
; NumAgprs: 256
; TotalNumVgprs: 512
; ScratchSize: 3220
; MemoryBound: 0
; FloatMode: 240
; IeeeMode: 1
; LDSByteSize: 1168 bytes/workgroup (compile time only)
; SGPRBlocks: 3
; VGPRBlocks: 63
; NumSGPRsForWavesPerEU: 25
; NumVGPRsForWavesPerEU: 512
; AccumOffset: 256
; Occupancy: 1
; WaveLimiterHint : 1
; COMPUTE_PGM_RSRC2:SCRATCH_EN: 1
; COMPUTE_PGM_RSRC2:USER_SGPR: 2
; COMPUTE_PGM_RSRC2:TRAP_HANDLER: 0
; COMPUTE_PGM_RSRC2:TGID_X_EN: 1
; COMPUTE_PGM_RSRC2:TGID_Y_EN: 0
; COMPUTE_PGM_RSRC2:TGID_Z_EN: 0
; COMPUTE_PGM_RSRC2:TIDIG_COMP_CNT: 2
; COMPUTE_PGM_RSRC3_GFX90A:ACCUM_OFFSET: 63
; COMPUTE_PGM_RSRC3_GFX90A:TG_SPLIT: 0
	.section	.text._ZN4RAJA34launch_new_reduce_global_fcn_fixedIZN8rajaperf4apps8MASS3DEA17runHipVariantImplILm64ELm1EEEvNS1_9VariantIDEEUlNS_14LaunchContextTINS_3hip33LaunchContextIndicesAndDimsPolicyINS7_14IndicesAndDimsILb0ELb0ELb1ELb0EEEEEEEE_Li64ENS_4expt15ForallParamPackIJEEEEEvT_T1_,"axG",@progbits,_ZN4RAJA34launch_new_reduce_global_fcn_fixedIZN8rajaperf4apps8MASS3DEA17runHipVariantImplILm64ELm1EEEvNS1_9VariantIDEEUlNS_14LaunchContextTINS_3hip33LaunchContextIndicesAndDimsPolicyINS7_14IndicesAndDimsILb0ELb0ELb1ELb0EEEEEEEE_Li64ENS_4expt15ForallParamPackIJEEEEEvT_T1_,comdat
	.protected	_ZN4RAJA34launch_new_reduce_global_fcn_fixedIZN8rajaperf4apps8MASS3DEA17runHipVariantImplILm64ELm1EEEvNS1_9VariantIDEEUlNS_14LaunchContextTINS_3hip33LaunchContextIndicesAndDimsPolicyINS7_14IndicesAndDimsILb0ELb0ELb1ELb0EEEEEEEE_Li64ENS_4expt15ForallParamPackIJEEEEEvT_T1_ ; -- Begin function _ZN4RAJA34launch_new_reduce_global_fcn_fixedIZN8rajaperf4apps8MASS3DEA17runHipVariantImplILm64ELm1EEEvNS1_9VariantIDEEUlNS_14LaunchContextTINS_3hip33LaunchContextIndicesAndDimsPolicyINS7_14IndicesAndDimsILb0ELb0ELb1ELb0EEEEEEEE_Li64ENS_4expt15ForallParamPackIJEEEEEvT_T1_
	.globl	_ZN4RAJA34launch_new_reduce_global_fcn_fixedIZN8rajaperf4apps8MASS3DEA17runHipVariantImplILm64ELm1EEEvNS1_9VariantIDEEUlNS_14LaunchContextTINS_3hip33LaunchContextIndicesAndDimsPolicyINS7_14IndicesAndDimsILb0ELb0ELb1ELb0EEEEEEEE_Li64ENS_4expt15ForallParamPackIJEEEEEvT_T1_
	.p2align	8
	.type	_ZN4RAJA34launch_new_reduce_global_fcn_fixedIZN8rajaperf4apps8MASS3DEA17runHipVariantImplILm64ELm1EEEvNS1_9VariantIDEEUlNS_14LaunchContextTINS_3hip33LaunchContextIndicesAndDimsPolicyINS7_14IndicesAndDimsILb0ELb0ELb1ELb0EEEEEEEE_Li64ENS_4expt15ForallParamPackIJEEEEEvT_T1_,@function
_ZN4RAJA34launch_new_reduce_global_fcn_fixedIZN8rajaperf4apps8MASS3DEA17runHipVariantImplILm64ELm1EEEvNS1_9VariantIDEEUlNS_14LaunchContextTINS_3hip33LaunchContextIndicesAndDimsPolicyINS7_14IndicesAndDimsILb0ELb0ELb1ELb0EEEEEEEE_Li64ENS_4expt15ForallParamPackIJEEEEEvT_T1_: ; @_ZN4RAJA34launch_new_reduce_global_fcn_fixedIZN8rajaperf4apps8MASS3DEA17runHipVariantImplILm64ELm1EEEvNS1_9VariantIDEEUlNS_14LaunchContextTINS_3hip33LaunchContextIndicesAndDimsPolicyINS7_14IndicesAndDimsILb0ELb0ELb1ELb0EEEEEEEE_Li64ENS_4expt15ForallParamPackIJEEEEEvT_T1_
; %bb.0:
	s_load_dwordx8 s[4:11], s[0:1], 0x0
	s_mov_b32 s3, 0
	v_mov_b64_e32 v[2:3], s[2:3]
	s_waitcnt lgkmcnt(0)
	v_cmp_le_i64_e32 vcc, s[4:5], v[2:3]
	s_cbranch_vccnz .LBB2_39
; %bb.1:
	s_load_dwordx2 s[0:1], s[0:1], 0x34
	v_bfe_u32 v32, v0, 20, 10
	v_cmp_ne_u32_e32 vcc, 0, v32
	v_and_b32_e32 v34, 0x3ff, v0
	s_waitcnt lgkmcnt(0)
	s_and_b32 s12, s0, 0xffff
	s_and_saveexec_b64 s[4:5], vcc
	s_xor_b64 s[4:5], exec, s[4:5]
; %bb.2:
	s_mov_b32 s13, 0
	v_mov_b32_e32 v35, 0
; %bb.3:
	s_or_saveexec_b64 s[18:19], s[4:5]
	s_and_b32 s14, s1, 0xffff
	s_lshr_b32 s16, s0, 16
	v_mov_b64_e32 v[2:3], s[12:13]
	v_bfe_u32 v36, v0, 10, 10
	s_xor_b64 exec, exec, s[18:19]
	s_cbranch_execz .LBB2_13
; %bb.4:
	v_mov_b32_e32 v35, 0
	v_lshlrev_b32_e32 v0, 3, v36
	v_mov_b32_e32 v1, v35
	s_cmp_lg_u32 s14, 0
	v_mad_u64_u32 v[0:1], s[20:21], v34, 40, v[0:1]
	v_lshl_add_u64 v[0:1], s[6:7], 0, v[0:1]
	s_cselect_b64 s[6:7], -1, 0
	v_lshlrev_b32_e32 v2, 5, v36
	v_lshlrev_b32_e32 v3, 3, v34
	s_movk_i32 s15, 0x3f0
	s_mov_b32 s13, 0
	v_add3_u32 v10, v2, v3, s15
	v_cndmask_b32_e64 v2, 0, 1, s[6:7]
	v_cmp_gt_u32_e64 s[0:1], 4, v34
	v_cmp_gt_u32_e64 s[4:5], 5, v36
	v_mov_b32_e32 v37, v35
	s_mov_b32 s17, s13
	s_mul_i32 s20, s12, 40
	s_mov_b32 s21, s13
	s_lshl_b32 s22, s16, 3
	s_mov_b32 s23, s13
	s_lshl_b32 s15, s12, 3
	s_lshl_b32 s33, s16, 5
	v_cmp_ne_u32_e64 s[6:7], 1, v2
	s_branch .LBB2_6
.LBB2_5:                                ;   in Loop: Header=BB2_6 Depth=1
	s_or_b64 exec, exec, s[24:25]
	s_and_b64 vcc, exec, s[6:7]
	s_cbranch_vccz .LBB2_12
.LBB2_6:                                ; =>This Loop Header: Depth=1
                                        ;     Child Loop BB2_9 Depth 2
                                        ;       Child Loop BB2_11 Depth 3
	s_and_saveexec_b64 s[24:25], s[0:1]
	s_cbranch_execz .LBB2_5
; %bb.7:                                ;   in Loop: Header=BB2_6 Depth=1
	s_mov_b64 s[26:27], 0
	v_mov_b32_e32 v11, v10
	v_mov_b64_e32 v[2:3], v[0:1]
	v_mov_b64_e32 v[4:5], v[34:35]
	s_branch .LBB2_9
.LBB2_8:                                ;   in Loop: Header=BB2_9 Depth=2
	s_or_b64 exec, exec, s[28:29]
	v_lshl_add_u64 v[4:5], v[4:5], 0, s[12:13]
	v_cmp_lt_u64_e32 vcc, 3, v[4:5]
	v_lshl_add_u64 v[2:3], v[2:3], 0, s[20:21]
	s_or_b64 s[26:27], vcc, s[26:27]
	v_add_u32_e32 v11, s15, v11
	s_andn2_b64 exec, exec, s[26:27]
	s_cbranch_execz .LBB2_5
.LBB2_9:                                ;   Parent Loop BB2_6 Depth=1
                                        ; =>  This Loop Header: Depth=2
                                        ;       Child Loop BB2_11 Depth 3
	s_and_saveexec_b64 s[28:29], s[4:5]
	s_cbranch_execz .LBB2_8
; %bb.10:                               ;   in Loop: Header=BB2_9 Depth=2
	s_mov_b64 s[30:31], 0
	v_mov_b32_e32 v12, v11
	v_mov_b64_e32 v[6:7], v[2:3]
	v_mov_b64_e32 v[8:9], v[36:37]
.LBB2_11:                               ;   Parent Loop BB2_6 Depth=1
                                        ;     Parent Loop BB2_9 Depth=2
                                        ; =>    This Inner Loop Header: Depth=3
	global_load_dwordx2 v[14:15], v[6:7], off
	v_lshl_add_u64 v[8:9], v[8:9], 0, s[16:17]
	v_cmp_lt_u64_e32 vcc, 4, v[8:9]
	v_lshl_add_u64 v[6:7], v[6:7], 0, s[22:23]
	s_or_b64 s[30:31], vcc, s[30:31]
	s_waitcnt vmcnt(0)
	ds_write_b64 v12, v[14:15]
	v_add_u32_e32 v12, s33, v12
	s_andn2_b64 exec, exec, s[30:31]
	s_cbranch_execnz .LBB2_11
	s_branch .LBB2_8
.LBB2_12:
	v_mov_b64_e32 v[2:3], s[12:13]
.LBB2_13:
	s_or_b64 exec, exec, s[18:19]
	s_mov_b32 s15, 0
	v_cmp_gt_u32_e32 vcc, 5, v34
	s_and_saveexec_b64 s[6:7], vcc
	s_cbranch_execz .LBB2_22
; %bb.14:
	s_movk_i32 s4, 0xc8
	v_mul_lo_u32 v0, v34, s4
	v_mul_u32_u24_e32 v1, 40, v36
	v_lshlrev_b32_e32 v4, 3, v32
	v_add3_u32 v16, v0, v1, v4
	v_mul_hi_u32_u24_e32 v1, 0xc8, v32
	v_mul_u32_u24_e32 v0, 0xc8, v32
	v_mov_b32_e32 v4, 0x3e8
	v_mul_lo_u32 v17, v2, s4
	v_mad_u64_u32 v[0:1], s[4:5], s2, v4, v[0:1]
	v_mad_u64_u32 v[0:1], s[4:5], v36, 40, v[0:1]
	v_mov_b32_e32 v37, 0
	v_lshl_add_u64 v[0:1], v[34:35], 3, v[0:1]
	s_mov_b32 s17, s15
	v_cmp_gt_u32_e32 vcc, 5, v36
	v_cmp_gt_u32_e64 s[0:1], 5, v32
	v_mov_b32_e32 v33, v37
	s_mul_i32 s18, s16, 40
	s_lshl_b32 s13, s14, 3
	v_lshl_add_u64 v[0:1], s[8:9], 0, v[0:1]
	v_lshlrev_b64 v[4:5], 3, v[2:3]
	s_mov_b32 s19, s15
	s_mul_i32 s8, s14, 0xc8
	s_mov_b32 s9, s15
	s_mov_b64 s[20:21], 0
	v_mov_b64_e32 v[6:7], v[34:35]
	s_branch .LBB2_16
.LBB2_15:                               ;   in Loop: Header=BB2_16 Depth=1
	s_or_b64 exec, exec, s[22:23]
	v_lshl_add_u64 v[6:7], v[6:7], 0, v[2:3]
	v_cmp_lt_u64_e64 s[4:5], 4, v[6:7]
	v_add_u32_e32 v16, v16, v17
	s_or_b64 s[20:21], s[4:5], s[20:21]
	v_lshl_add_u64 v[0:1], v[0:1], 0, v[4:5]
	s_andn2_b64 exec, exec, s[20:21]
	s_cbranch_execz .LBB2_22
.LBB2_16:                               ; =>This Loop Header: Depth=1
                                        ;     Child Loop BB2_19 Depth 2
                                        ;       Child Loop BB2_21 Depth 3
	s_and_saveexec_b64 s[22:23], vcc
	s_cbranch_execz .LBB2_15
; %bb.17:                               ;   in Loop: Header=BB2_16 Depth=1
	s_mov_b64 s[24:25], 0
	v_mov_b64_e32 v[8:9], v[0:1]
	v_mov_b32_e32 v18, v16
	v_mov_b64_e32 v[10:11], v[36:37]
	s_branch .LBB2_19
.LBB2_18:                               ;   in Loop: Header=BB2_19 Depth=2
	s_or_b64 exec, exec, s[26:27]
	v_lshl_add_u64 v[10:11], v[10:11], 0, s[16:17]
	v_cmp_lt_u64_e64 s[4:5], 4, v[10:11]
	v_add_u32_e32 v18, s18, v18
	s_or_b64 s[24:25], s[4:5], s[24:25]
	v_lshl_add_u64 v[8:9], v[8:9], 0, s[18:19]
	s_andn2_b64 exec, exec, s[24:25]
	s_cbranch_execz .LBB2_15
.LBB2_19:                               ;   Parent Loop BB2_16 Depth=1
                                        ; =>  This Loop Header: Depth=2
                                        ;       Child Loop BB2_21 Depth 3
	s_and_saveexec_b64 s[26:27], s[0:1]
	s_cbranch_execz .LBB2_18
; %bb.20:                               ;   in Loop: Header=BB2_19 Depth=2
	s_mov_b64 s[28:29], 0
	v_mov_b64_e32 v[12:13], v[8:9]
	v_mov_b32_e32 v19, v18
	v_mov_b64_e32 v[14:15], v[32:33]
.LBB2_21:                               ;   Parent Loop BB2_16 Depth=1
                                        ;     Parent Loop BB2_19 Depth=2
                                        ; =>    This Inner Loop Header: Depth=3
	global_load_dwordx2 v[20:21], v[12:13], off
	v_lshl_add_u64 v[14:15], v[14:15], 0, s[14:15]
	v_cmp_lt_u64_e64 s[4:5], 4, v[14:15]
	v_lshl_add_u64 v[12:13], v[12:13], 0, s[8:9]
	s_or_b64 s[28:29], s[4:5], s[28:29]
	s_waitcnt vmcnt(0)
	ds_write_b64 v19, v[20:21]
	v_add_u32_e32 v19, s13, v19
	s_andn2_b64 exec, exec, s[28:29]
	s_cbranch_execnz .LBB2_21
	s_branch .LBB2_18
.LBB2_22:
	s_or_b64 exec, exec, s[6:7]
	v_cmp_gt_u32_e32 vcc, 4, v34
	s_waitcnt lgkmcnt(0)
	; wave barrier
	s_waitcnt lgkmcnt(0)
	s_and_saveexec_b64 s[0:1], vcc
	s_cbranch_execz .LBB2_39
; %bb.23:
	s_lshl_b64 s[2:3], s[2:3], 15
	s_mov_b32 s13, 0
	v_mov_b32_e32 v37, 0
	s_add_u32 s4, s10, s2
	v_mov_b32_e32 v0, 0x3f0
	s_mov_b32 s17, s13
	v_cmp_gt_u32_e32 vcc, 4, v36
	v_cmp_gt_u32_e64 s[0:1], 4, v32
	v_mov_b32_e32 v33, v37
	s_addc_u32 s5, s11, s3
	v_lshl_add_u32 v62, v34, 3, v0
	s_lshl_b32 s28, s12, 3
	s_mov_b64 s[6:7], 0
	s_branch .LBB2_25
.LBB2_24:                               ;   in Loop: Header=BB2_25 Depth=1
	s_or_b64 exec, exec, s[8:9]
	v_lshl_add_u64 v[34:35], v[34:35], 0, s[12:13]
	v_cmp_lt_u64_e64 s[2:3], 3, v[34:35]
	s_or_b64 s[6:7], s[2:3], s[6:7]
	v_add_u32_e32 v62, s28, v62
	s_andn2_b64 exec, exec, s[6:7]
	s_cbranch_execz .LBB2_39
.LBB2_25:                               ; =>This Loop Header: Depth=1
                                        ;     Child Loop BB2_28 Depth 2
                                        ;       Child Loop BB2_30 Depth 3
                                        ;         Child Loop BB2_31 Depth 4
                                        ;           Child Loop BB2_32 Depth 5
                                        ;             Child Loop BB2_33 Depth 6
                                        ;               Child Loop BB2_34 Depth 7
	s_and_saveexec_b64 s[8:9], vcc
	s_cbranch_execz .LBB2_24
; %bb.26:                               ;   in Loop: Header=BB2_25 Depth=1
	v_lshl_add_u64 v[38:39], v[34:35], 3, s[4:5]
	s_mov_b64 s[10:11], 0
	v_mov_b64_e32 v[40:41], v[36:37]
	s_branch .LBB2_28
.LBB2_27:                               ;   in Loop: Header=BB2_28 Depth=2
	s_or_b64 exec, exec, s[18:19]
	v_lshl_add_u64 v[40:41], v[40:41], 0, s[16:17]
	v_cmp_lt_u64_e64 s[2:3], 3, v[40:41]
	s_or_b64 s[10:11], s[2:3], s[10:11]
	s_andn2_b64 exec, exec, s[10:11]
	s_cbranch_execz .LBB2_24
.LBB2_28:                               ;   Parent Loop BB2_25 Depth=1
                                        ; =>  This Loop Header: Depth=2
                                        ;       Child Loop BB2_30 Depth 3
                                        ;         Child Loop BB2_31 Depth 4
                                        ;           Child Loop BB2_32 Depth 5
                                        ;             Child Loop BB2_33 Depth 6
                                        ;               Child Loop BB2_34 Depth 7
	s_and_saveexec_b64 s[18:19], s[0:1]
	s_cbranch_execz .LBB2_27
; %bb.29:                               ;   in Loop: Header=BB2_28 Depth=2
	v_lshlrev_b32_e32 v8, 3, v40
	ds_read2_b64 v[0:3], v8 offset0:126 offset1:130
	ds_read2_b64 v[4:7], v8 offset0:134 offset1:138
	ds_read_b64 v[42:43], v8 offset:1136
	v_lshlrev_b64 v[8:9], 5, v[40:41]
	v_lshl_add_u64 v[44:45], v[38:39], 0, v[8:9]
	s_mov_b64 s[20:21], 0
	v_mov_b64_e32 v[46:47], v[32:33]
.LBB2_30:                               ;   Parent Loop BB2_25 Depth=1
                                        ;     Parent Loop BB2_28 Depth=2
                                        ; =>    This Loop Header: Depth=3
                                        ;         Child Loop BB2_31 Depth 4
                                        ;           Child Loop BB2_32 Depth 5
                                        ;             Child Loop BB2_33 Depth 6
                                        ;               Child Loop BB2_34 Depth 7
	v_lshlrev_b32_e32 v16, 3, v46
	ds_read2_b64 v[8:11], v16 offset0:126 offset1:130
	ds_read2_b64 v[12:15], v16 offset0:134 offset1:138
	ds_read_b64 v[48:49], v16 offset:1136
	v_lshlrev_b64 v[16:17], 7, v[46:47]
	v_lshl_add_u64 v[50:51], v[44:45], 0, v[16:17]
	s_movk_i32 s29, 0x3f0
	s_mov_b64 s[2:3], 0
.LBB2_31:                               ;   Parent Loop BB2_25 Depth=1
                                        ;     Parent Loop BB2_28 Depth=2
                                        ;       Parent Loop BB2_30 Depth=3
                                        ; =>      This Loop Header: Depth=4
                                        ;           Child Loop BB2_32 Depth 5
                                        ;             Child Loop BB2_33 Depth 6
                                        ;               Child Loop BB2_34 Depth 7
	s_lshl_b64 s[22:23], s[2:3], 9
	v_lshl_add_u64 v[52:53], v[50:51], 0, s[22:23]
	s_mov_b64 s[22:23], 0
.LBB2_32:                               ;   Parent Loop BB2_25 Depth=1
                                        ;     Parent Loop BB2_28 Depth=2
                                        ;       Parent Loop BB2_30 Depth=3
                                        ;         Parent Loop BB2_31 Depth=4
                                        ; =>        This Loop Header: Depth=5
                                        ;             Child Loop BB2_33 Depth 6
                                        ;               Child Loop BB2_34 Depth 7
	s_lshl_b32 s24, s22, 3
	v_mov_b32_e32 v24, s24
	ds_read2_b64 v[16:19], v24 offset0:126 offset1:130
	ds_read2_b64 v[20:23], v24 offset0:134 offset1:138
	ds_read_b64 v[54:55], v24 offset:1136
	s_lshl_b64 s[24:25], s[22:23], 11
	v_lshl_add_u64 v[56:57], v[52:53], 0, s[24:25]
	s_mov_b64 s[24:25], 0
.LBB2_33:                               ;   Parent Loop BB2_25 Depth=1
                                        ;     Parent Loop BB2_28 Depth=2
                                        ;       Parent Loop BB2_30 Depth=3
                                        ;         Parent Loop BB2_31 Depth=4
                                        ;           Parent Loop BB2_32 Depth=5
                                        ; =>          This Loop Header: Depth=6
                                        ;               Child Loop BB2_34 Depth 7
	s_lshl_b32 s26, s24, 3
	v_mov_b32_e32 v58, s26
	ds_read2_b64 v[24:27], v58 offset0:126 offset1:130
	ds_read2_b64 v[28:31], v58 offset0:134 offset1:138
	ds_read_b64 v[60:61], v58 offset:1136
	s_mov_b64 s[26:27], 5
	s_mov_b32 s30, 0
	v_mov_b64_e32 v[58:59], 0
	v_mov_b32_e32 v63, v62
	s_mov_b32 s31, s29
.LBB2_34:                               ;   Parent Loop BB2_25 Depth=1
                                        ;     Parent Loop BB2_28 Depth=2
                                        ;       Parent Loop BB2_30 Depth=3
                                        ;         Parent Loop BB2_31 Depth=4
                                        ;           Parent Loop BB2_32 Depth=5
                                        ;             Parent Loop BB2_33 Depth=6
                                        ; =>            This Inner Loop Header: Depth=7
	v_mov_b32_e32 v66, s31
	ds_read_b64 v[64:65], v63
	ds_read_b64 v[66:67], v66
	v_mov_b32_e32 v74, s30
	s_add_u32 s26, s26, -1
	s_addc_u32 s27, s27, -1
	s_addk_i32 s30, 0xc8
	s_waitcnt lgkmcnt(0)
	v_mul_f64 v[68:69], v[64:65], v[66:67]
	v_mul_f64 v[64:65], v[0:1], v[68:69]
	;; [unrolled: 1-line block ×5, first 2 shown]
	ds_read2_b64 v[64:67], v74 offset1:1
	s_add_i32 s31, s31, 32
	v_add_u32_e32 v63, 32, v63
	s_cmp_lg_u64 s[26:27], 0
	s_waitcnt lgkmcnt(0)
	v_fmac_f64_e32 v[58:59], v[64:65], v[72:73]
	v_mul_f64 v[64:65], v[10:11], v[70:71]
	v_mul_f64 v[64:65], v[26:27], v[64:65]
	v_fmac_f64_e32 v[58:59], v[66:67], v[64:65]
	v_mul_f64 v[64:65], v[12:13], v[70:71]
	v_mul_f64 v[72:73], v[28:29], v[64:65]
	ds_read2_b64 v[64:67], v74 offset0:2 offset1:3
	s_waitcnt lgkmcnt(0)
	v_fmac_f64_e32 v[58:59], v[64:65], v[72:73]
	v_mul_f64 v[64:65], v[14:15], v[70:71]
	v_mul_f64 v[64:65], v[30:31], v[64:65]
	v_fmac_f64_e32 v[58:59], v[66:67], v[64:65]
	v_mul_f64 v[64:65], v[48:49], v[70:71]
	v_mul_f64 v[70:71], v[60:61], v[64:65]
	ds_read2_b64 v[64:67], v74 offset0:4 offset1:5
	s_waitcnt lgkmcnt(0)
	v_fmac_f64_e32 v[58:59], v[70:71], v[64:65]
	v_mul_f64 v[64:65], v[2:3], v[68:69]
	v_mul_f64 v[70:71], v[18:19], v[64:65]
	v_mul_f64 v[64:65], v[8:9], v[70:71]
	v_mul_f64 v[64:65], v[24:25], v[64:65]
	v_fmac_f64_e32 v[58:59], v[64:65], v[66:67]
	v_mul_f64 v[64:65], v[10:11], v[70:71]
	v_mul_f64 v[72:73], v[26:27], v[64:65]
	ds_read2_b64 v[64:67], v74 offset0:6 offset1:7
	s_waitcnt lgkmcnt(0)
	v_fmac_f64_e32 v[58:59], v[72:73], v[64:65]
	v_mul_f64 v[64:65], v[12:13], v[70:71]
	v_mul_f64 v[64:65], v[28:29], v[64:65]
	v_fmac_f64_e32 v[58:59], v[64:65], v[66:67]
	v_mul_f64 v[64:65], v[14:15], v[70:71]
	v_mul_f64 v[72:73], v[30:31], v[64:65]
	ds_read2_b64 v[64:67], v74 offset0:8 offset1:9
	s_waitcnt lgkmcnt(0)
	v_fmac_f64_e32 v[58:59], v[72:73], v[64:65]
	v_mul_f64 v[64:65], v[48:49], v[70:71]
	v_mul_f64 v[64:65], v[60:61], v[64:65]
	v_fmac_f64_e32 v[58:59], v[64:65], v[66:67]
	v_mul_f64 v[64:65], v[4:5], v[68:69]
	v_mul_f64 v[70:71], v[20:21], v[64:65]
	;; [unrolled: 1-line block ×4, first 2 shown]
	ds_read2_b64 v[64:67], v74 offset0:10 offset1:11
	s_waitcnt lgkmcnt(0)
	v_fmac_f64_e32 v[58:59], v[72:73], v[64:65]
	v_mul_f64 v[64:65], v[10:11], v[70:71]
	v_mul_f64 v[64:65], v[26:27], v[64:65]
	v_fmac_f64_e32 v[58:59], v[64:65], v[66:67]
	v_mul_f64 v[64:65], v[12:13], v[70:71]
	v_mul_f64 v[72:73], v[28:29], v[64:65]
	ds_read2_b64 v[64:67], v74 offset0:12 offset1:13
	s_waitcnt lgkmcnt(0)
	v_fmac_f64_e32 v[58:59], v[72:73], v[64:65]
	v_mul_f64 v[64:65], v[14:15], v[70:71]
	v_mul_f64 v[64:65], v[30:31], v[64:65]
	v_fmac_f64_e32 v[58:59], v[64:65], v[66:67]
	v_mul_f64 v[64:65], v[48:49], v[70:71]
	v_mul_f64 v[70:71], v[60:61], v[64:65]
	ds_read2_b64 v[64:67], v74 offset0:14 offset1:15
	s_waitcnt lgkmcnt(0)
	v_fmac_f64_e32 v[58:59], v[70:71], v[64:65]
	v_mul_f64 v[64:65], v[6:7], v[68:69]
	v_mul_f64 v[70:71], v[22:23], v[64:65]
	;; [unrolled: 1-line block ×4, first 2 shown]
	v_fmac_f64_e32 v[58:59], v[64:65], v[66:67]
	v_mul_f64 v[64:65], v[10:11], v[70:71]
	v_mul_f64 v[72:73], v[26:27], v[64:65]
	ds_read2_b64 v[64:67], v74 offset0:16 offset1:17
	s_waitcnt lgkmcnt(0)
	v_fmac_f64_e32 v[58:59], v[72:73], v[64:65]
	v_mul_f64 v[64:65], v[12:13], v[70:71]
	v_mul_f64 v[64:65], v[28:29], v[64:65]
	v_fmac_f64_e32 v[58:59], v[64:65], v[66:67]
	v_mul_f64 v[64:65], v[14:15], v[70:71]
	v_mul_f64 v[72:73], v[30:31], v[64:65]
	ds_read2_b64 v[64:67], v74 offset0:18 offset1:19
	s_waitcnt lgkmcnt(0)
	v_fmac_f64_e32 v[58:59], v[72:73], v[64:65]
	v_mul_f64 v[64:65], v[48:49], v[70:71]
	v_mul_f64 v[64:65], v[60:61], v[64:65]
	v_fmac_f64_e32 v[58:59], v[64:65], v[66:67]
	v_mul_f64 v[64:65], v[42:43], v[68:69]
	v_mul_f64 v[68:69], v[54:55], v[64:65]
	;; [unrolled: 1-line block ×4, first 2 shown]
	ds_read2_b64 v[64:67], v74 offset0:20 offset1:21
	s_waitcnt lgkmcnt(0)
	v_fmac_f64_e32 v[58:59], v[70:71], v[64:65]
	v_mul_f64 v[64:65], v[10:11], v[68:69]
	v_mul_f64 v[64:65], v[26:27], v[64:65]
	v_fmac_f64_e32 v[58:59], v[64:65], v[66:67]
	v_mul_f64 v[64:65], v[12:13], v[68:69]
	v_mul_f64 v[70:71], v[28:29], v[64:65]
	ds_read2_b64 v[64:67], v74 offset0:22 offset1:23
	s_waitcnt lgkmcnt(0)
	v_fmac_f64_e32 v[58:59], v[70:71], v[64:65]
	v_mul_f64 v[64:65], v[14:15], v[68:69]
	v_mul_f64 v[64:65], v[30:31], v[64:65]
	v_fmac_f64_e32 v[58:59], v[64:65], v[66:67]
	ds_read_b64 v[66:67], v74 offset:192
	v_mul_f64 v[64:65], v[48:49], v[68:69]
	v_mul_f64 v[64:65], v[60:61], v[64:65]
	s_waitcnt lgkmcnt(0)
	v_fmac_f64_e32 v[58:59], v[64:65], v[66:67]
	s_cbranch_scc1 .LBB2_34
; %bb.35:                               ;   in Loop: Header=BB2_33 Depth=6
	s_lshl_b64 s[26:27], s[24:25], 13
	s_add_u32 s24, s24, 1
	s_addc_u32 s25, s25, 0
	v_lshl_add_u64 v[24:25], v[56:57], 0, s[26:27]
	s_cmp_eq_u64 s[24:25], 4
	global_store_dwordx2 v[24:25], v[58:59], off
	s_cbranch_scc0 .LBB2_33
; %bb.36:                               ;   in Loop: Header=BB2_32 Depth=5
	s_add_u32 s22, s22, 1
	s_addc_u32 s23, s23, 0
	s_cmp_eq_u64 s[22:23], 4
	s_cbranch_scc0 .LBB2_32
; %bb.37:                               ;   in Loop: Header=BB2_31 Depth=4
	s_add_u32 s2, s2, 1
	s_addc_u32 s3, s3, 0
	s_add_i32 s29, s29, 8
	s_cmp_eq_u64 s[2:3], 4
	s_cbranch_scc0 .LBB2_31
; %bb.38:                               ;   in Loop: Header=BB2_30 Depth=3
	v_lshl_add_u64 v[46:47], v[46:47], 0, s[14:15]
	v_cmp_lt_u64_e64 s[2:3], 3, v[46:47]
	s_or_b64 s[20:21], s[2:3], s[20:21]
	s_andn2_b64 exec, exec, s[20:21]
	s_cbranch_execnz .LBB2_30
	s_branch .LBB2_27
.LBB2_39:
	s_endpgm
	.section	.rodata,"a",@progbits
	.p2align	6, 0x0
	.amdhsa_kernel _ZN4RAJA34launch_new_reduce_global_fcn_fixedIZN8rajaperf4apps8MASS3DEA17runHipVariantImplILm64ELm1EEEvNS1_9VariantIDEEUlNS_14LaunchContextTINS_3hip33LaunchContextIndicesAndDimsPolicyINS7_14IndicesAndDimsILb0ELb0ELb1ELb0EEEEEEEE_Li64ENS_4expt15ForallParamPackIJEEEEEvT_T1_
		.amdhsa_group_segment_fixed_size 1168
		.amdhsa_private_segment_fixed_size 0
		.amdhsa_kernarg_size 296
		.amdhsa_user_sgpr_count 2
		.amdhsa_user_sgpr_dispatch_ptr 0
		.amdhsa_user_sgpr_queue_ptr 0
		.amdhsa_user_sgpr_kernarg_segment_ptr 1
		.amdhsa_user_sgpr_dispatch_id 0
		.amdhsa_user_sgpr_kernarg_preload_length 0
		.amdhsa_user_sgpr_kernarg_preload_offset 0
		.amdhsa_user_sgpr_private_segment_size 0
		.amdhsa_uses_dynamic_stack 0
		.amdhsa_enable_private_segment 0
		.amdhsa_system_sgpr_workgroup_id_x 1
		.amdhsa_system_sgpr_workgroup_id_y 0
		.amdhsa_system_sgpr_workgroup_id_z 0
		.amdhsa_system_sgpr_workgroup_info 0
		.amdhsa_system_vgpr_workitem_id 2
		.amdhsa_next_free_vgpr 75
		.amdhsa_next_free_sgpr 34
		.amdhsa_accum_offset 76
		.amdhsa_reserve_vcc 1
		.amdhsa_float_round_mode_32 0
		.amdhsa_float_round_mode_16_64 0
		.amdhsa_float_denorm_mode_32 3
		.amdhsa_float_denorm_mode_16_64 3
		.amdhsa_dx10_clamp 1
		.amdhsa_ieee_mode 1
		.amdhsa_fp16_overflow 0
		.amdhsa_tg_split 0
		.amdhsa_exception_fp_ieee_invalid_op 0
		.amdhsa_exception_fp_denorm_src 0
		.amdhsa_exception_fp_ieee_div_zero 0
		.amdhsa_exception_fp_ieee_overflow 0
		.amdhsa_exception_fp_ieee_underflow 0
		.amdhsa_exception_fp_ieee_inexact 0
		.amdhsa_exception_int_div_zero 0
	.end_amdhsa_kernel
	.section	.text._ZN4RAJA34launch_new_reduce_global_fcn_fixedIZN8rajaperf4apps8MASS3DEA17runHipVariantImplILm64ELm1EEEvNS1_9VariantIDEEUlNS_14LaunchContextTINS_3hip33LaunchContextIndicesAndDimsPolicyINS7_14IndicesAndDimsILb0ELb0ELb1ELb0EEEEEEEE_Li64ENS_4expt15ForallParamPackIJEEEEEvT_T1_,"axG",@progbits,_ZN4RAJA34launch_new_reduce_global_fcn_fixedIZN8rajaperf4apps8MASS3DEA17runHipVariantImplILm64ELm1EEEvNS1_9VariantIDEEUlNS_14LaunchContextTINS_3hip33LaunchContextIndicesAndDimsPolicyINS7_14IndicesAndDimsILb0ELb0ELb1ELb0EEEEEEEE_Li64ENS_4expt15ForallParamPackIJEEEEEvT_T1_,comdat
.Lfunc_end2:
	.size	_ZN4RAJA34launch_new_reduce_global_fcn_fixedIZN8rajaperf4apps8MASS3DEA17runHipVariantImplILm64ELm1EEEvNS1_9VariantIDEEUlNS_14LaunchContextTINS_3hip33LaunchContextIndicesAndDimsPolicyINS7_14IndicesAndDimsILb0ELb0ELb1ELb0EEEEEEEE_Li64ENS_4expt15ForallParamPackIJEEEEEvT_T1_, .Lfunc_end2-_ZN4RAJA34launch_new_reduce_global_fcn_fixedIZN8rajaperf4apps8MASS3DEA17runHipVariantImplILm64ELm1EEEvNS1_9VariantIDEEUlNS_14LaunchContextTINS_3hip33LaunchContextIndicesAndDimsPolicyINS7_14IndicesAndDimsILb0ELb0ELb1ELb0EEEEEEEE_Li64ENS_4expt15ForallParamPackIJEEEEEvT_T1_
                                        ; -- End function
	.section	.AMDGPU.csdata,"",@progbits
; Kernel info:
; codeLenInByte = 2124
; NumSgprs: 40
; NumVgprs: 75
; NumAgprs: 0
; TotalNumVgprs: 75
; ScratchSize: 0
; MemoryBound: 0
; FloatMode: 240
; IeeeMode: 1
; LDSByteSize: 1168 bytes/workgroup (compile time only)
; SGPRBlocks: 4
; VGPRBlocks: 9
; NumSGPRsForWavesPerEU: 40
; NumVGPRsForWavesPerEU: 75
; AccumOffset: 76
; Occupancy: 6
; WaveLimiterHint : 0
; COMPUTE_PGM_RSRC2:SCRATCH_EN: 0
; COMPUTE_PGM_RSRC2:USER_SGPR: 2
; COMPUTE_PGM_RSRC2:TRAP_HANDLER: 0
; COMPUTE_PGM_RSRC2:TGID_X_EN: 1
; COMPUTE_PGM_RSRC2:TGID_Y_EN: 0
; COMPUTE_PGM_RSRC2:TGID_Z_EN: 0
; COMPUTE_PGM_RSRC2:TIDIG_COMP_CNT: 2
; COMPUTE_PGM_RSRC3_GFX90A:ACCUM_OFFSET: 18
; COMPUTE_PGM_RSRC3_GFX90A:TG_SPLIT: 0
	.text
	.p2alignl 6, 3212836864
	.fill 256, 4, 3212836864
	.type	__hip_cuid_9480d1c766c544a4,@object ; @__hip_cuid_9480d1c766c544a4
	.section	.bss,"aw",@nobits
	.globl	__hip_cuid_9480d1c766c544a4
__hip_cuid_9480d1c766c544a4:
	.byte	0                               ; 0x0
	.size	__hip_cuid_9480d1c766c544a4, 1

	.ident	"AMD clang version 19.0.0git (https://github.com/RadeonOpenCompute/llvm-project roc-6.4.0 25133 c7fe45cf4b819c5991fe208aaa96edf142730f1d)"
	.section	".note.GNU-stack","",@progbits
	.addrsig
	.addrsig_sym __hip_cuid_9480d1c766c544a4
	.amdgpu_metadata
---
amdhsa.kernels:
  - .agpr_count:     0
    .args:
      - .address_space:  global
        .offset:         0
        .size:           8
        .value_kind:     global_buffer
      - .address_space:  global
        .offset:         8
        .size:           8
        .value_kind:     global_buffer
      - .address_space:  global
        .offset:         16
        .size:           8
        .value_kind:     global_buffer
    .group_segment_fixed_size: 1168
    .kernarg_segment_align: 8
    .kernarg_segment_size: 24
    .language:       OpenCL C
    .language_version:
      - 2
      - 0
    .max_flat_workgroup_size: 64
    .name:           _ZN8rajaperf4apps8Mass3DEAILm64EEEvPdS2_S2_
    .private_segment_fixed_size: 0
    .sgpr_count:     32
    .sgpr_spill_count: 0
    .symbol:         _ZN8rajaperf4apps8Mass3DEAILm64EEEvPdS2_S2_.kd
    .uniform_work_group_size: 1
    .uses_dynamic_stack: false
    .vgpr_count:     171
    .vgpr_spill_count: 0
    .wavefront_size: 64
  - .agpr_count:     256
    .args:
      - .offset:         0
        .size:           32
        .value_kind:     by_value
      - .offset:         32
        .size:           1
        .value_kind:     by_value
    .group_segment_fixed_size: 1168
    .kernarg_segment_align: 8
    .kernarg_segment_size: 36
    .language:       OpenCL C
    .language_version:
      - 2
      - 0
    .max_flat_workgroup_size: 64
    .name:           _ZN4RAJA34launch_new_reduce_global_fcn_fixedIZN8rajaperf4apps8MASS3DEA17runHipVariantImplILm64ELm0EEEvNS1_9VariantIDEEUlNS_14LaunchContextTINS_3hip33LaunchContextIndicesAndDimsPolicyINS7_14IndicesAndDimsILb0ELb0ELb0ELb0EEEEEEEE_Li64ENS_4expt15ForallParamPackIJEEEEEvT_T1_
    .private_segment_fixed_size: 3220
    .sgpr_count:     25
    .sgpr_spill_count: 0
    .symbol:         _ZN4RAJA34launch_new_reduce_global_fcn_fixedIZN8rajaperf4apps8MASS3DEA17runHipVariantImplILm64ELm0EEEvNS1_9VariantIDEEUlNS_14LaunchContextTINS_3hip33LaunchContextIndicesAndDimsPolicyINS7_14IndicesAndDimsILb0ELb0ELb0ELb0EEEEEEEE_Li64ENS_4expt15ForallParamPackIJEEEEEvT_T1_.kd
    .uniform_work_group_size: 1
    .uses_dynamic_stack: false
    .vgpr_count:     512
    .vgpr_spill_count: 988
    .wavefront_size: 64
  - .agpr_count:     0
    .args:
      - .offset:         0
        .size:           32
        .value_kind:     by_value
      - .offset:         32
        .size:           1
        .value_kind:     by_value
      - .offset:         40
        .size:           4
        .value_kind:     hidden_block_count_x
      - .offset:         44
        .size:           4
        .value_kind:     hidden_block_count_y
      - .offset:         48
        .size:           4
        .value_kind:     hidden_block_count_z
      - .offset:         52
        .size:           2
        .value_kind:     hidden_group_size_x
      - .offset:         54
        .size:           2
        .value_kind:     hidden_group_size_y
      - .offset:         56
        .size:           2
        .value_kind:     hidden_group_size_z
      - .offset:         58
        .size:           2
        .value_kind:     hidden_remainder_x
      - .offset:         60
        .size:           2
        .value_kind:     hidden_remainder_y
      - .offset:         62
        .size:           2
        .value_kind:     hidden_remainder_z
      - .offset:         80
        .size:           8
        .value_kind:     hidden_global_offset_x
      - .offset:         88
        .size:           8
        .value_kind:     hidden_global_offset_y
      - .offset:         96
        .size:           8
        .value_kind:     hidden_global_offset_z
      - .offset:         104
        .size:           2
        .value_kind:     hidden_grid_dims
    .group_segment_fixed_size: 1168
    .kernarg_segment_align: 8
    .kernarg_segment_size: 296
    .language:       OpenCL C
    .language_version:
      - 2
      - 0
    .max_flat_workgroup_size: 64
    .name:           _ZN4RAJA34launch_new_reduce_global_fcn_fixedIZN8rajaperf4apps8MASS3DEA17runHipVariantImplILm64ELm1EEEvNS1_9VariantIDEEUlNS_14LaunchContextTINS_3hip33LaunchContextIndicesAndDimsPolicyINS7_14IndicesAndDimsILb0ELb0ELb1ELb0EEEEEEEE_Li64ENS_4expt15ForallParamPackIJEEEEEvT_T1_
    .private_segment_fixed_size: 0
    .sgpr_count:     40
    .sgpr_spill_count: 0
    .symbol:         _ZN4RAJA34launch_new_reduce_global_fcn_fixedIZN8rajaperf4apps8MASS3DEA17runHipVariantImplILm64ELm1EEEvNS1_9VariantIDEEUlNS_14LaunchContextTINS_3hip33LaunchContextIndicesAndDimsPolicyINS7_14IndicesAndDimsILb0ELb0ELb1ELb0EEEEEEEE_Li64ENS_4expt15ForallParamPackIJEEEEEvT_T1_.kd
    .uniform_work_group_size: 1
    .uses_dynamic_stack: false
    .vgpr_count:     75
    .vgpr_spill_count: 0
    .wavefront_size: 64
amdhsa.target:   amdgcn-amd-amdhsa--gfx942
amdhsa.version:
  - 1
  - 2
...

	.end_amdgpu_metadata
